;; amdgpu-corpus repo=ROCm/rocFFT kind=compiled arch=gfx906 opt=O3
	.text
	.amdgcn_target "amdgcn-amd-amdhsa--gfx906"
	.amdhsa_code_object_version 6
	.protected	bluestein_single_back_len1872_dim1_dp_op_CI_CI ; -- Begin function bluestein_single_back_len1872_dim1_dp_op_CI_CI
	.globl	bluestein_single_back_len1872_dim1_dp_op_CI_CI
	.p2align	8
	.type	bluestein_single_back_len1872_dim1_dp_op_CI_CI,@function
bluestein_single_back_len1872_dim1_dp_op_CI_CI: ; @bluestein_single_back_len1872_dim1_dp_op_CI_CI
; %bb.0:
	s_mov_b64 s[54:55], s[2:3]
	s_mov_b64 s[52:53], s[0:1]
	s_load_dwordx4 s[0:3], s[4:5], 0x28
	v_mul_u32_u24_e32 v1, 0x1a5, v0
	v_add_u32_sdwa v211, s6, v1 dst_sel:DWORD dst_unused:UNUSED_PAD src0_sel:DWORD src1_sel:WORD_1
	v_mov_b32_e32 v212, 0
	s_add_u32 s52, s52, s7
	s_waitcnt lgkmcnt(0)
	v_cmp_gt_u64_e32 vcc, s[0:1], v[211:212]
	s_addc_u32 s53, s53, 0
	s_and_saveexec_b64 s[0:1], vcc
	s_cbranch_execz .LBB0_15
; %bb.1:
	s_load_dwordx2 s[14:15], s[4:5], 0x0
	s_load_dwordx2 s[12:13], s[4:5], 0x38
	s_movk_i32 s0, 0x9c
	v_mul_lo_u16_sdwa v1, v1, s0 dst_sel:DWORD dst_unused:UNUSED_PAD src0_sel:WORD_1 src1_sel:DWORD
	v_sub_u16_e32 v217, v0, v1
	s_movk_i32 s0, 0x90
	v_cmp_gt_u16_e64 s[0:1], s0, v217
	v_lshlrev_b32_e32 v176, 4, v217
	s_and_saveexec_b64 s[6:7], s[0:1]
	s_cbranch_execz .LBB0_3
; %bb.2:
	s_load_dwordx2 s[8:9], s[4:5], 0x18
	s_waitcnt lgkmcnt(0)
	s_load_dwordx4 s[8:11], s[8:9], 0x0
	s_waitcnt lgkmcnt(0)
	v_mad_u64_u32 v[0:1], s[16:17], s10, v211, 0
	v_mad_u64_u32 v[2:3], s[16:17], s8, v217, 0
	;; [unrolled: 1-line block ×4, first 2 shown]
	v_mov_b32_e32 v1, v4
	v_lshlrev_b64 v[0:1], 4, v[0:1]
	v_mov_b32_e32 v3, v5
	v_mov_b32_e32 v6, s3
	v_lshlrev_b64 v[2:3], 4, v[2:3]
	v_add_co_u32_e32 v0, vcc, s2, v0
	v_addc_co_u32_e32 v1, vcc, v6, v1, vcc
	v_add_co_u32_e32 v16, vcc, v0, v2
	v_addc_co_u32_e32 v17, vcc, v1, v3, vcc
	v_mov_b32_e32 v0, s15
	v_add_co_u32_e32 v94, vcc, s14, v176
	s_mul_i32 s2, s9, 0x900
	s_mul_hi_u32 s3, s8, 0x900
	v_addc_co_u32_e32 v95, vcc, 0, v0, vcc
	s_add_i32 s2, s3, s2
	s_mul_i32 s3, s8, 0x900
	v_mov_b32_e32 v0, s2
	v_add_co_u32_e32 v18, vcc, s3, v16
	v_addc_co_u32_e32 v19, vcc, v17, v0, vcc
	global_load_dwordx4 v[0:3], v[16:17], off
	global_load_dwordx4 v[4:7], v[18:19], off
	global_load_dwordx4 v[8:11], v176, s[14:15]
	global_load_dwordx4 v[12:15], v176, s[14:15] offset:2304
	v_mov_b32_e32 v16, s2
	v_add_co_u32_e32 v20, vcc, s3, v18
	v_addc_co_u32_e32 v21, vcc, v19, v16, vcc
	s_movk_i32 s8, 0x1000
	v_add_co_u32_e32 v28, vcc, s8, v94
	v_addc_co_u32_e32 v29, vcc, 0, v95, vcc
	v_mov_b32_e32 v22, s2
	v_add_co_u32_e32 v36, vcc, s3, v20
	v_addc_co_u32_e32 v37, vcc, v21, v22, vcc
	global_load_dwordx4 v[16:19], v[20:21], off
	s_nop 0
	global_load_dwordx4 v[20:23], v[28:29], off offset:512
	global_load_dwordx4 v[24:27], v[28:29], off offset:2816
	v_mov_b32_e32 v28, s2
	v_add_co_u32_e32 v38, vcc, s3, v36
	v_addc_co_u32_e32 v39, vcc, v37, v28, vcc
	s_movk_i32 s8, 0x2000
	v_add_co_u32_e32 v48, vcc, s8, v94
	v_addc_co_u32_e32 v49, vcc, 0, v95, vcc
	global_load_dwordx4 v[28:31], v[36:37], off
	global_load_dwordx4 v[32:35], v[38:39], off
	v_mov_b32_e32 v36, s2
	v_add_co_u32_e32 v50, vcc, s3, v38
	v_addc_co_u32_e32 v51, vcc, v39, v36, vcc
	global_load_dwordx4 v[36:39], v[50:51], off
	global_load_dwordx4 v[40:43], v[48:49], off offset:1024
	global_load_dwordx4 v[44:47], v[48:49], off offset:3328
	v_mov_b32_e32 v48, s2
	v_add_co_u32_e32 v52, vcc, s3, v50
	v_addc_co_u32_e32 v53, vcc, v51, v48, vcc
	s_movk_i32 s8, 0x3000
	v_add_co_u32_e32 v64, vcc, s8, v94
	v_addc_co_u32_e32 v65, vcc, 0, v95, vcc
	v_mov_b32_e32 v54, s2
	v_add_co_u32_e32 v66, vcc, s3, v52
	v_addc_co_u32_e32 v67, vcc, v53, v54, vcc
	global_load_dwordx4 v[48:51], v[52:53], off
	s_nop 0
	global_load_dwordx4 v[52:55], v[66:67], off
	global_load_dwordx4 v[56:59], v[64:65], off offset:1536
	global_load_dwordx4 v[60:63], v[64:65], off offset:3840
	v_mov_b32_e32 v64, s2
	v_add_co_u32_e32 v72, vcc, s3, v66
	v_addc_co_u32_e32 v73, vcc, v67, v64, vcc
	s_movk_i32 s8, 0x4000
	v_add_co_u32_e32 v68, vcc, s8, v94
	v_addc_co_u32_e32 v69, vcc, 0, v95, vcc
	v_mov_b32_e32 v74, s2
	v_add_co_u32_e32 v76, vcc, s3, v72
	v_addc_co_u32_e32 v77, vcc, v73, v74, vcc
	s_movk_i32 s8, 0x5000
	v_add_co_u32_e32 v88, vcc, s8, v94
	v_addc_co_u32_e32 v89, vcc, 0, v95, vcc
	v_mov_b32_e32 v78, s2
	v_add_co_u32_e32 v90, vcc, s3, v76
	v_addc_co_u32_e32 v91, vcc, v77, v78, vcc
	global_load_dwordx4 v[64:67], v[72:73], off
	v_add_co_u32_e32 v92, vcc, s3, v90
	global_load_dwordx4 v[68:71], v[68:69], off offset:2048
	s_movk_i32 s8, 0x6000
	global_load_dwordx4 v[72:75], v[76:77], off
	s_nop 0
	global_load_dwordx4 v[76:79], v[90:91], off
	global_load_dwordx4 v[80:83], v[88:89], off offset:256
	global_load_dwordx4 v[84:87], v[88:89], off offset:2560
	v_mov_b32_e32 v88, s2
	v_addc_co_u32_e32 v93, vcc, v91, v88, vcc
	v_add_co_u32_e32 v104, vcc, s8, v94
	v_addc_co_u32_e32 v105, vcc, 0, v95, vcc
	global_load_dwordx4 v[88:91], v[92:93], off
	v_mov_b32_e32 v94, s2
	v_add_co_u32_e32 v106, vcc, s3, v92
	v_addc_co_u32_e32 v107, vcc, v93, v94, vcc
	global_load_dwordx4 v[92:95], v[104:105], off offset:768
	global_load_dwordx4 v[96:99], v[106:107], off
	global_load_dwordx4 v[100:103], v[104:105], off offset:3072
	s_waitcnt vmcnt(23)
	v_mul_f64 v[104:105], v[2:3], v[10:11]
	v_mul_f64 v[10:11], v[0:1], v[10:11]
	v_fma_f64 v[0:1], v[0:1], v[8:9], v[104:105]
	v_fma_f64 v[2:3], v[2:3], v[8:9], -v[10:11]
	s_waitcnt vmcnt(22)
	v_mul_f64 v[8:9], v[6:7], v[14:15]
	v_mul_f64 v[10:11], v[4:5], v[14:15]
	s_waitcnt vmcnt(20)
	v_mul_f64 v[14:15], v[18:19], v[22:23]
	v_mul_f64 v[22:23], v[16:17], v[22:23]
	;; [unrolled: 3-line block ×4, first 2 shown]
	v_fma_f64 v[4:5], v[4:5], v[12:13], v[8:9]
	v_fma_f64 v[6:7], v[6:7], v[12:13], -v[10:11]
	v_fma_f64 v[8:9], v[16:17], v[20:21], v[14:15]
	v_fma_f64 v[10:11], v[18:19], v[20:21], -v[22:23]
	;; [unrolled: 2-line block ×4, first 2 shown]
	ds_write_b128 v176, v[0:3]
	ds_write_b128 v176, v[4:7] offset:2304
	ds_write_b128 v176, v[8:11] offset:4608
	;; [unrolled: 1-line block ×4, first 2 shown]
	s_waitcnt vmcnt(14)
	v_mul_f64 v[0:1], v[38:39], v[46:47]
	v_mul_f64 v[2:3], v[36:37], v[46:47]
	s_waitcnt vmcnt(11)
	v_mul_f64 v[4:5], v[50:51], v[58:59]
	v_mul_f64 v[6:7], v[48:49], v[58:59]
	s_waitcnt vmcnt(10)
	v_mul_f64 v[8:9], v[54:55], v[62:63]
	v_mul_f64 v[10:11], v[52:53], v[62:63]
	v_fma_f64 v[0:1], v[36:37], v[44:45], v[0:1]
	v_fma_f64 v[2:3], v[38:39], v[44:45], -v[2:3]
	v_fma_f64 v[4:5], v[48:49], v[56:57], v[4:5]
	v_fma_f64 v[6:7], v[50:51], v[56:57], -v[6:7]
	;; [unrolled: 2-line block ×3, first 2 shown]
	s_waitcnt vmcnt(8)
	v_mul_f64 v[12:13], v[66:67], v[70:71]
	v_mul_f64 v[14:15], v[64:65], v[70:71]
	s_waitcnt vmcnt(5)
	v_mul_f64 v[16:17], v[74:75], v[82:83]
	v_mul_f64 v[18:19], v[72:73], v[82:83]
	s_waitcnt vmcnt(4)
	v_mul_f64 v[20:21], v[78:79], v[86:87]
	v_mul_f64 v[22:23], v[76:77], v[86:87]
	v_fma_f64 v[12:13], v[64:65], v[68:69], v[12:13]
	v_fma_f64 v[14:15], v[66:67], v[68:69], -v[14:15]
	v_fma_f64 v[16:17], v[72:73], v[80:81], v[16:17]
	v_fma_f64 v[18:19], v[74:75], v[80:81], -v[18:19]
	;; [unrolled: 2-line block ×3, first 2 shown]
	s_waitcnt vmcnt(2)
	v_mul_f64 v[24:25], v[90:91], v[94:95]
	v_mul_f64 v[26:27], v[88:89], v[94:95]
	s_waitcnt vmcnt(0)
	v_mul_f64 v[28:29], v[98:99], v[102:103]
	v_mul_f64 v[30:31], v[96:97], v[102:103]
	v_fma_f64 v[24:25], v[88:89], v[92:93], v[24:25]
	v_fma_f64 v[26:27], v[90:91], v[92:93], -v[26:27]
	v_fma_f64 v[28:29], v[96:97], v[100:101], v[28:29]
	v_fma_f64 v[30:31], v[98:99], v[100:101], -v[30:31]
	ds_write_b128 v176, v[0:3] offset:11520
	ds_write_b128 v176, v[4:7] offset:13824
	;; [unrolled: 1-line block ×8, first 2 shown]
.LBB0_3:
	s_or_b64 exec, exec, s[6:7]
	s_load_dwordx2 s[6:7], s[4:5], 0x20
	s_load_dwordx2 s[2:3], s[4:5], 0x8
	s_waitcnt lgkmcnt(0)
	s_barrier
	s_waitcnt lgkmcnt(0)
                                        ; implicit-def: $vgpr4_vgpr5
                                        ; implicit-def: $vgpr8_vgpr9
                                        ; implicit-def: $vgpr12_vgpr13
                                        ; implicit-def: $vgpr20_vgpr21
                                        ; implicit-def: $vgpr28_vgpr29
                                        ; implicit-def: $vgpr44_vgpr45
                                        ; implicit-def: $vgpr52_vgpr53
                                        ; implicit-def: $vgpr48_vgpr49
                                        ; implicit-def: $vgpr40_vgpr41
                                        ; implicit-def: $vgpr36_vgpr37
                                        ; implicit-def: $vgpr32_vgpr33
                                        ; implicit-def: $vgpr24_vgpr25
                                        ; implicit-def: $vgpr16_vgpr17
	s_and_saveexec_b64 s[4:5], s[0:1]
	s_cbranch_execz .LBB0_5
; %bb.4:
	ds_read_b128 v[4:7], v176
	ds_read_b128 v[16:19], v176 offset:2304
	ds_read_b128 v[24:27], v176 offset:4608
	;; [unrolled: 1-line block ×12, first 2 shown]
.LBB0_5:
	s_or_b64 exec, exec, s[4:5]
	s_waitcnt lgkmcnt(0)
	v_add_f64 v[106:107], v[18:19], -v[54:55]
	v_add_f64 v[100:101], v[16:17], -v[52:53]
	s_mov_b32 s26, 0x4267c47c
	s_mov_b32 s27, 0xbfddbe06
	v_add_f64 v[64:65], v[52:53], v[16:17]
	v_add_f64 v[120:121], v[54:55], v[18:19]
	v_add_f64 v[84:85], v[26:27], -v[46:47]
	v_add_f64 v[82:83], v[24:25], -v[44:45]
	v_mul_f64 v[66:67], v[106:107], s[26:27]
	v_mul_f64 v[68:69], v[100:101], s[26:27]
	s_mov_b32 s4, 0xe00740e9
	s_mov_b32 s22, 0x42a4c3d2
	;; [unrolled: 1-line block ×4, first 2 shown]
	v_add_f64 v[70:71], v[44:45], v[24:25]
	v_add_f64 v[122:123], v[46:47], v[26:27]
	v_fma_f64 v[0:1], v[64:65], s[4:5], v[66:67]
	v_fma_f64 v[2:3], v[120:121], s[4:5], -v[68:69]
	v_mul_f64 v[72:73], v[84:85], s[22:23]
	v_mul_f64 v[74:75], v[82:83], s[22:23]
	v_add_f64 v[94:95], v[10:11], -v[50:51]
	v_add_f64 v[90:91], v[8:9], -v[48:49]
	s_mov_b32 s8, 0x1ea71119
	s_mov_b32 s30, 0x66966769
	;; [unrolled: 1-line block ×4, first 2 shown]
	v_add_f64 v[0:1], v[4:5], v[0:1]
	v_add_f64 v[2:3], v[6:7], v[2:3]
	v_fma_f64 v[56:57], v[70:71], s[8:9], v[72:73]
	v_fma_f64 v[58:59], v[122:123], s[8:9], -v[74:75]
	v_add_f64 v[76:77], v[8:9], v[48:49]
	v_add_f64 v[128:129], v[10:11], v[50:51]
	v_mul_f64 v[78:79], v[94:95], s[30:31]
	v_mul_f64 v[80:81], v[90:91], s[30:31]
	v_add_f64 v[98:99], v[14:15], -v[42:43]
	v_add_f64 v[96:97], v[12:13], -v[40:41]
	s_mov_b32 s10, 0xebaa3ed8
	s_mov_b32 s20, 0x2ef20147
	;; [unrolled: 1-line block ×4, first 2 shown]
	v_add_f64 v[0:1], v[56:57], v[0:1]
	v_add_f64 v[2:3], v[58:59], v[2:3]
	v_fma_f64 v[56:57], v[76:77], s[10:11], v[78:79]
	v_add_f64 v[86:87], v[12:13], v[40:41]
	v_mul_f64 v[88:89], v[98:99], s[20:21]
	v_fma_f64 v[58:59], v[128:129], s[10:11], -v[80:81]
	v_add_f64 v[152:153], v[14:15], v[42:43]
	v_mul_f64 v[92:93], v[96:97], s[20:21]
	v_add_f64 v[110:111], v[34:35], -v[30:31]
	v_add_f64 v[116:117], v[32:33], -v[28:29]
	s_mov_b32 s18, 0xb2365da1
	s_mov_b32 s36, 0x24c2f84
	;; [unrolled: 1-line block ×4, first 2 shown]
	v_add_f64 v[0:1], v[56:57], v[0:1]
	v_fma_f64 v[56:57], v[86:87], s[18:19], v[88:89]
	v_add_f64 v[104:105], v[28:29], v[32:33]
	v_mul_f64 v[102:103], v[110:111], s[36:37]
	v_add_f64 v[2:3], v[58:59], v[2:3]
	v_fma_f64 v[58:59], v[152:153], s[18:19], -v[92:93]
	v_add_f64 v[154:155], v[30:31], v[34:35]
	v_mul_f64 v[108:109], v[116:117], s[36:37]
	v_add_f64 v[124:125], v[38:39], -v[22:23]
	v_add_f64 v[126:127], v[36:37], -v[20:21]
	s_mov_b32 s24, 0xd0032e0c
	s_mov_b32 s34, 0x4bc48dbf
	;; [unrolled: 1-line block ×4, first 2 shown]
	v_add_f64 v[0:1], v[56:57], v[0:1]
	v_fma_f64 v[56:57], v[104:105], s[24:25], v[102:103]
	v_add_f64 v[2:3], v[58:59], v[2:3]
	v_fma_f64 v[58:59], v[154:155], s[24:25], -v[108:109]
	v_add_f64 v[112:113], v[20:21], v[36:37]
	v_mul_f64 v[114:115], v[124:125], s[34:35]
	v_add_f64 v[158:159], v[22:23], v[38:39]
	v_mul_f64 v[118:119], v[126:127], s[34:35]
	s_mov_b32 s28, 0x93053d00
	s_mov_b32 s29, 0xbfef11f4
	v_add_f64 v[0:1], v[56:57], v[0:1]
	v_add_f64 v[2:3], v[58:59], v[2:3]
	v_mul_lo_u16_e32 v212, 13, v217
	v_fma_f64 v[56:57], v[112:113], s[28:29], v[114:115]
	v_fma_f64 v[58:59], v[158:159], s[28:29], -v[118:119]
	s_barrier
	v_add_f64 v[213:214], v[56:57], v[0:1]
	v_add_f64 v[215:216], v[58:59], v[2:3]
	s_and_saveexec_b64 s[16:17], s[0:1]
	s_cbranch_execz .LBB0_7
; %bb.6:
	v_mul_f64 v[56:57], v[120:121], s[28:29]
	s_mov_b32 s41, 0x3fcea1e5
	s_mov_b32 s40, s34
	v_mul_f64 v[58:59], v[122:123], s[4:5]
	v_mul_f64 v[62:63], v[128:129], s[24:25]
	s_mov_b32 s39, 0x3fe5384d
	s_mov_b32 s38, s36
	v_mul_f64 v[162:163], v[152:153], s[8:9]
	v_fma_f64 v[60:61], v[100:101], s[40:41], v[56:57]
	v_mul_f64 v[166:167], v[106:107], s[34:35]
	s_mov_b32 s43, 0x3fddbe06
	v_fma_f64 v[156:157], v[82:83], s[26:27], v[58:59]
	v_fma_f64 v[164:165], v[90:91], s[38:39], v[62:63]
	s_mov_b32 s42, s26
	v_fma_f64 v[56:57], v[100:101], s[34:35], v[56:57]
	v_fma_f64 v[168:169], v[96:97], s[22:23], v[162:163]
	v_add_f64 v[60:61], v[6:7], v[60:61]
	v_fma_f64 v[170:171], v[64:65], s[28:29], v[166:167]
	v_mul_f64 v[172:173], v[94:95], s[36:37]
	v_fma_f64 v[166:167], v[64:65], s[28:29], -v[166:167]
	v_fma_f64 v[58:59], v[82:83], s[42:43], v[58:59]
	s_mov_b32 s49, 0x3fea55e2
	v_add_f64 v[56:57], v[6:7], v[56:57]
	s_mov_b32 s48, s22
	v_add_f64 v[60:61], v[156:157], v[60:61]
	v_add_f64 v[170:171], v[4:5], v[170:171]
	v_mul_f64 v[177:178], v[98:99], s[48:49]
	v_add_f64 v[166:167], v[4:5], v[166:167]
	v_fma_f64 v[179:180], v[76:77], s[24:25], v[172:173]
	v_fma_f64 v[62:63], v[90:91], s[36:37], v[62:63]
	v_add_f64 v[56:57], v[58:59], v[56:57]
	v_mul_f64 v[156:157], v[154:155], s[18:19]
	v_add_f64 v[60:61], v[164:165], v[60:61]
	v_mul_f64 v[164:165], v[84:85], s[42:43]
	v_mul_f64 v[58:59], v[110:111], s[20:21]
	v_fma_f64 v[162:163], v[96:97], s[48:49], v[162:163]
	s_mov_b32 s47, 0x3fedeba7
	s_mov_b32 s46, s20
	v_add_f64 v[56:57], v[62:63], v[56:57]
	v_mul_f64 v[160:161], v[158:159], s[10:11]
	v_add_f64 v[60:61], v[168:169], v[60:61]
	v_fma_f64 v[168:169], v[70:71], s[4:5], v[164:165]
	v_fma_f64 v[164:165], v[70:71], s[4:5], -v[164:165]
	v_fma_f64 v[174:175], v[116:117], s[46:47], v[156:157]
	v_fma_f64 v[156:157], v[116:117], s[20:21], v[156:157]
	s_mov_b32 s45, 0x3fefc445
	v_add_f64 v[56:57], v[162:163], v[56:57]
	s_mov_b32 s44, s30
	v_mul_f64 v[62:63], v[124:125], s[44:45]
	v_add_f64 v[168:169], v[168:169], v[170:171]
	v_fma_f64 v[170:171], v[76:77], s[24:25], -v[172:173]
	v_add_f64 v[164:165], v[164:165], v[166:167]
	v_fma_f64 v[166:167], v[86:87], s[8:9], v[177:178]
	v_fma_f64 v[172:173], v[86:87], s[8:9], -v[177:178]
	v_fma_f64 v[162:163], v[126:127], s[30:31], v[160:161]
	v_fma_f64 v[160:161], v[126:127], s[44:45], v[160:161]
	v_add_f64 v[60:61], v[174:175], v[60:61]
	v_add_f64 v[168:169], v[179:180], v[168:169]
	v_fma_f64 v[174:175], v[112:113], s[10:11], -v[62:63]
	v_add_f64 v[164:165], v[170:171], v[164:165]
	v_fma_f64 v[170:171], v[104:105], s[18:19], v[58:59]
	v_fma_f64 v[58:59], v[104:105], s[18:19], -v[58:59]
	v_mul_f64 v[177:178], v[84:85], s[44:45]
	v_mul_f64 v[187:188], v[94:95], s[22:23]
	;; [unrolled: 1-line block ×3, first 2 shown]
	v_add_f64 v[166:167], v[166:167], v[168:169]
	v_fma_f64 v[168:169], v[112:113], s[10:11], v[62:63]
	v_add_f64 v[164:165], v[172:173], v[164:165]
	v_mul_f64 v[172:173], v[120:121], s[24:25]
	v_mul_f64 v[191:192], v[98:99], s[40:41]
	v_fma_f64 v[189:190], v[70:71], s[10:11], v[177:178]
	v_fma_f64 v[193:194], v[76:77], s[8:9], v[187:188]
	v_fma_f64 v[177:178], v[70:71], s[10:11], -v[177:178]
	v_add_f64 v[166:167], v[170:171], v[166:167]
	v_add_f64 v[170:171], v[156:157], v[56:57]
	;; [unrolled: 1-line block ×4, first 2 shown]
	v_mul_f64 v[162:163], v[122:123], s[10:11]
	v_mul_f64 v[199:200], v[98:99], s[30:31]
	v_add_f64 v[18:19], v[6:7], v[18:19]
	v_add_f64 v[16:17], v[4:5], v[16:17]
	;; [unrolled: 1-line block ×4, first 2 shown]
	v_mul_f64 v[160:161], v[106:107], s[36:37]
	v_fma_f64 v[166:167], v[100:101], s[38:39], v[172:173]
	v_add_f64 v[60:61], v[174:175], v[164:165]
	v_mul_f64 v[170:171], v[128:129], s[8:9]
	v_fma_f64 v[174:175], v[82:83], s[30:31], v[162:163]
	v_fma_f64 v[172:173], v[100:101], s[36:37], v[172:173]
	;; [unrolled: 1-line block ×3, first 2 shown]
	v_mul_f64 v[168:169], v[154:155], s[4:5]
	v_fma_f64 v[179:180], v[64:65], s[24:25], v[160:161]
	v_add_f64 v[166:167], v[6:7], v[166:167]
	v_fma_f64 v[160:161], v[64:65], s[24:25], -v[160:161]
	v_fma_f64 v[185:186], v[90:91], s[48:49], v[170:171]
	v_fma_f64 v[170:171], v[90:91], s[22:23], v[170:171]
	v_add_f64 v[172:173], v[6:7], v[172:173]
	v_mul_f64 v[164:165], v[158:159], s[18:19]
	v_fma_f64 v[181:182], v[116:117], s[26:27], v[168:169]
	v_add_f64 v[179:180], v[4:5], v[179:180]
	v_add_f64 v[166:167], v[174:175], v[166:167]
	v_fma_f64 v[174:175], v[96:97], s[34:35], v[183:184]
	v_add_f64 v[160:161], v[4:5], v[160:161]
	v_fma_f64 v[168:169], v[116:117], s[42:43], v[168:169]
	v_add_f64 v[162:163], v[162:163], v[172:173]
	v_mul_f64 v[172:173], v[110:111], s[42:43]
	v_add_f64 v[18:19], v[26:27], v[18:19]
	v_add_f64 v[179:180], v[189:190], v[179:180]
	;; [unrolled: 1-line block ×3, first 2 shown]
	v_fma_f64 v[185:186], v[86:87], s[28:29], v[191:192]
	v_add_f64 v[160:161], v[177:178], v[160:161]
	v_mul_f64 v[189:190], v[152:153], s[10:11]
	v_add_f64 v[162:163], v[170:171], v[162:163]
	v_mul_f64 v[170:171], v[124:125], s[20:21]
	v_fma_f64 v[177:178], v[104:105], s[4:5], v[172:173]
	v_add_f64 v[179:180], v[193:194], v[179:180]
	v_add_f64 v[166:167], v[174:175], v[166:167]
	v_fma_f64 v[174:175], v[96:97], s[40:41], v[183:184]
	v_fma_f64 v[183:184], v[76:77], s[8:9], -v[187:188]
	v_fma_f64 v[172:173], v[104:105], s[4:5], -v[172:173]
	v_mul_f64 v[193:194], v[94:95], s[42:43]
	v_fma_f64 v[197:198], v[96:97], s[44:45], v[189:190]
	v_mul_f64 v[187:188], v[158:159], s[8:9]
	v_add_f64 v[179:180], v[185:186], v[179:180]
	v_add_f64 v[166:167], v[181:182], v[166:167]
	;; [unrolled: 1-line block ×3, first 2 shown]
	v_fma_f64 v[174:175], v[86:87], s[28:29], -v[191:192]
	v_add_f64 v[160:161], v[183:184], v[160:161]
	v_fma_f64 v[181:182], v[112:113], s[18:19], v[170:171]
	v_fma_f64 v[185:186], v[126:127], s[46:47], v[164:165]
	;; [unrolled: 1-line block ×3, first 2 shown]
	v_add_f64 v[177:178], v[177:178], v[179:180]
	v_mul_f64 v[179:180], v[120:121], s[18:19]
	v_add_f64 v[168:169], v[168:169], v[162:163]
	v_mul_f64 v[183:184], v[122:123], s[24:25]
	v_add_f64 v[174:175], v[174:175], v[160:161]
	v_fma_f64 v[201:202], v[76:77], s[4:5], v[193:194]
	v_add_f64 v[162:163], v[185:186], v[166:167]
	v_fma_f64 v[189:190], v[96:97], s[30:31], v[189:190]
	v_add_f64 v[160:161], v[181:182], v[177:178]
	v_mul_f64 v[177:178], v[106:107], s[20:21]
	v_fma_f64 v[181:182], v[100:101], s[46:47], v[179:180]
	v_add_f64 v[166:167], v[164:165], v[168:169]
	v_fma_f64 v[164:165], v[112:113], s[18:19], -v[170:171]
	v_add_f64 v[170:171], v[172:173], v[174:175]
	v_mul_f64 v[174:175], v[84:85], s[38:39]
	v_mul_f64 v[168:169], v[128:129], s[4:5]
	v_fma_f64 v[172:173], v[82:83], s[36:37], v[183:184]
	v_fma_f64 v[185:186], v[64:65], s[18:19], v[177:178]
	v_add_f64 v[181:182], v[6:7], v[181:182]
	v_fma_f64 v[179:180], v[100:101], s[20:21], v[179:180]
	v_fma_f64 v[183:184], v[82:83], s[38:39], v[183:184]
	v_fma_f64 v[177:178], v[64:65], s[18:19], -v[177:178]
	v_fma_f64 v[195:196], v[70:71], s[24:25], v[174:175]
	v_fma_f64 v[191:192], v[90:91], s[26:27], v[168:169]
	;; [unrolled: 1-line block ×3, first 2 shown]
	v_add_f64 v[185:186], v[4:5], v[185:186]
	v_add_f64 v[172:173], v[172:173], v[181:182]
	;; [unrolled: 1-line block ×3, first 2 shown]
	v_mul_f64 v[181:182], v[154:155], s[28:29]
	v_fma_f64 v[174:175], v[70:71], s[24:25], -v[174:175]
	v_add_f64 v[177:178], v[4:5], v[177:178]
	v_fma_f64 v[193:194], v[76:77], s[4:5], -v[193:194]
	v_add_f64 v[164:165], v[164:165], v[170:171]
	v_add_f64 v[185:186], v[195:196], v[185:186]
	;; [unrolled: 1-line block ×4, first 2 shown]
	v_mul_f64 v[183:184], v[110:111], s[40:41]
	v_fma_f64 v[195:196], v[86:87], s[10:11], v[199:200]
	v_fma_f64 v[191:192], v[116:117], s[34:35], v[181:182]
	;; [unrolled: 1-line block ×3, first 2 shown]
	v_add_f64 v[174:175], v[174:175], v[177:178]
	v_add_f64 v[185:186], v[201:202], v[185:186]
	;; [unrolled: 1-line block ×4, first 2 shown]
	v_mul_f64 v[179:180], v[124:125], s[48:49]
	v_fma_f64 v[197:198], v[104:105], s[28:29], v[183:184]
	v_add_f64 v[16:17], v[24:25], v[16:17]
	v_add_f64 v[10:11], v[10:11], v[18:19]
	;; [unrolled: 1-line block ×4, first 2 shown]
	v_fma_f64 v[195:196], v[126:127], s[22:23], v[187:188]
	v_add_f64 v[168:169], v[189:190], v[168:169]
	v_add_f64 v[172:173], v[191:192], v[172:173]
	v_fma_f64 v[177:178], v[112:113], s[8:9], v[179:180]
	v_mul_f64 v[191:192], v[120:121], s[10:11]
	v_fma_f64 v[187:188], v[126:127], s[48:49], v[187:188]
	v_fma_f64 v[189:190], v[86:87], s[10:11], -v[199:200]
	v_add_f64 v[185:186], v[197:198], v[185:186]
	v_mul_f64 v[193:194], v[106:107], s[30:31]
	v_add_f64 v[181:182], v[181:182], v[168:169]
	v_add_f64 v[170:171], v[195:196], v[172:173]
	v_mul_f64 v[172:173], v[122:123], s[28:29]
	v_add_f64 v[8:9], v[8:9], v[16:17]
	v_mul_f64 v[199:200], v[84:85], s[34:35]
	v_add_f64 v[10:11], v[14:15], v[10:11]
	v_add_f64 v[168:169], v[177:178], v[185:186]
	v_fma_f64 v[177:178], v[104:105], s[28:29], -v[183:184]
	v_fma_f64 v[183:184], v[100:101], s[44:45], v[191:192]
	v_add_f64 v[185:186], v[189:190], v[174:175]
	v_add_f64 v[174:175], v[187:188], v[181:182]
	v_mul_f64 v[187:188], v[128:129], s[18:19]
	v_fma_f64 v[189:190], v[82:83], s[40:41], v[172:173]
	v_fma_f64 v[191:192], v[100:101], s[30:31], v[191:192]
	;; [unrolled: 1-line block ×3, first 2 shown]
	v_mul_f64 v[181:182], v[158:159], s[24:25]
	v_add_f64 v[183:184], v[6:7], v[183:184]
	v_add_f64 v[177:178], v[177:178], v[185:186]
	v_mul_f64 v[185:186], v[152:153], s[4:5]
	v_fma_f64 v[197:198], v[90:91], s[20:21], v[187:188]
	v_fma_f64 v[187:188], v[90:91], s[46:47], v[187:188]
	v_add_f64 v[191:192], v[6:7], v[191:192]
	v_fma_f64 v[201:202], v[64:65], s[10:11], v[193:194]
	v_fma_f64 v[193:194], v[64:65], s[10:11], -v[193:194]
	v_add_f64 v[183:184], v[189:190], v[183:184]
	v_mul_f64 v[189:190], v[154:155], s[8:9]
	v_fma_f64 v[203:204], v[96:97], s[26:27], v[185:186]
	v_fma_f64 v[185:186], v[96:97], s[42:43], v[185:186]
	v_add_f64 v[8:9], v[12:13], v[8:9]
	v_add_f64 v[172:173], v[172:173], v[191:192]
	v_fma_f64 v[179:180], v[112:113], s[8:9], -v[179:180]
	v_fma_f64 v[195:196], v[126:127], s[38:39], v[181:182]
	v_add_f64 v[183:184], v[197:198], v[183:184]
	v_fma_f64 v[197:198], v[116:117], s[48:49], v[189:190]
	v_fma_f64 v[189:190], v[116:117], s[22:23], v[189:190]
	;; [unrolled: 1-line block ×3, first 2 shown]
	v_fma_f64 v[199:200], v[70:71], s[28:29], -v[199:200]
	v_add_f64 v[172:173], v[187:188], v[172:173]
	v_add_f64 v[193:194], v[4:5], v[193:194]
	;; [unrolled: 1-line block ×5, first 2 shown]
	v_mul_f64 v[146:147], v[64:65], s[4:5]
	v_mul_f64 v[150:151], v[120:121], s[4:5]
	v_fma_f64 v[181:182], v[126:127], s[36:37], v[181:182]
	v_add_f64 v[185:186], v[185:186], v[172:173]
	v_add_f64 v[172:173], v[179:180], v[177:178]
	;; [unrolled: 1-line block ×4, first 2 shown]
	v_mul_f64 v[199:200], v[124:125], s[36:37]
	v_mul_f64 v[106:107], v[106:107], s[22:23]
	;; [unrolled: 1-line block ×3, first 2 shown]
	v_add_f64 v[201:202], v[4:5], v[201:202]
	v_add_f64 v[10:11], v[38:39], v[10:11]
	;; [unrolled: 1-line block ×3, first 2 shown]
	v_mul_f64 v[142:143], v[70:71], s[8:9]
	v_add_f64 v[179:180], v[195:196], v[183:184]
	v_add_f64 v[183:184], v[189:190], v[185:186]
	v_mul_f64 v[189:190], v[120:121], s[8:9]
	v_mul_f64 v[148:149], v[122:123], s[8:9]
	v_add_f64 v[68:69], v[68:69], v[150:151]
	v_add_f64 v[36:37], v[146:147], -v[66:67]
	v_fma_f64 v[185:186], v[112:113], s[24:25], v[199:200]
	v_mul_f64 v[122:123], v[122:123], s[18:19]
	v_mul_f64 v[84:85], v[84:85], s[20:21]
	v_add_f64 v[120:121], v[181:182], v[183:184]
	v_fma_f64 v[183:184], v[100:101], s[48:49], v[189:190]
	v_fma_f64 v[100:101], v[100:101], s[22:23], v[189:190]
	v_fma_f64 v[181:182], v[112:113], s[24:25], -v[199:200]
	v_fma_f64 v[199:200], v[64:65], s[8:9], v[106:107]
	v_fma_f64 v[38:39], v[64:65], s[8:9], -v[106:107]
	v_mul_f64 v[209:210], v[98:99], s[42:43]
	v_fma_f64 v[191:192], v[76:77], s[18:19], v[205:206]
	v_add_f64 v[201:202], v[207:208], v[201:202]
	v_add_f64 v[10:11], v[22:23], v[10:11]
	;; [unrolled: 1-line block ×3, first 2 shown]
	v_mul_f64 v[140:141], v[76:77], s[10:11]
	v_mul_f64 v[144:145], v[128:129], s[10:11]
	v_add_f64 v[183:184], v[6:7], v[183:184]
	v_add_f64 v[100:101], v[6:7], v[100:101]
	v_mul_f64 v[24:25], v[94:95], s[34:35]
	v_add_f64 v[66:67], v[74:75], v[148:149]
	v_add_f64 v[6:7], v[6:7], v[68:69]
	v_add_f64 v[68:69], v[142:143], -v[72:73]
	v_add_f64 v[20:21], v[4:5], v[36:37]
	v_mul_f64 v[128:129], v[128:129], s[28:29]
	v_fma_f64 v[195:196], v[82:83], s[46:47], v[122:123]
	v_fma_f64 v[82:83], v[82:83], s[20:21], v[122:123]
	v_add_f64 v[94:95], v[4:5], v[199:200]
	v_fma_f64 v[64:65], v[70:71], s[18:19], -v[84:85]
	v_add_f64 v[4:5], v[4:5], v[38:39]
	v_fma_f64 v[187:188], v[86:87], s[4:5], v[209:210]
	v_add_f64 v[191:192], v[191:192], v[201:202]
	v_fma_f64 v[197:198], v[76:77], s[18:19], -v[205:206]
	v_fma_f64 v[26:27], v[70:71], s[18:19], v[84:85]
	v_add_f64 v[10:11], v[30:31], v[10:11]
	v_add_f64 v[8:9], v[28:29], v[8:9]
	v_mul_f64 v[134:135], v[86:87], s[18:19]
	v_mul_f64 v[138:139], v[152:153], s[18:19]
	v_fma_f64 v[18:19], v[76:77], s[28:29], v[24:25]
	v_fma_f64 v[22:23], v[76:77], s[28:29], -v[24:25]
	v_add_f64 v[24:25], v[80:81], v[144:145]
	v_add_f64 v[6:7], v[66:67], v[6:7]
	v_add_f64 v[36:37], v[140:141], -v[78:79]
	v_add_f64 v[20:21], v[68:69], v[20:21]
	v_mul_f64 v[152:153], v[152:153], s[24:25]
	v_fma_f64 v[189:190], v[90:91], s[40:41], v[128:129]
	v_fma_f64 v[90:91], v[90:91], s[34:35], v[128:129]
	v_add_f64 v[82:83], v[82:83], v[100:101]
	v_mul_f64 v[16:17], v[98:99], s[38:39]
	v_add_f64 v[4:5], v[64:65], v[4:5]
	v_mul_f64 v[203:204], v[110:111], s[22:23]
	v_add_f64 v[187:188], v[187:188], v[191:192]
	v_fma_f64 v[177:178], v[86:87], s[4:5], -v[209:210]
	v_add_f64 v[191:192], v[197:198], v[193:194]
	v_add_f64 v[183:184], v[195:196], v[183:184]
	;; [unrolled: 1-line block ×5, first 2 shown]
	v_mul_f64 v[132:133], v[104:105], s[24:25]
	v_mul_f64 v[136:137], v[154:155], s[24:25]
	v_add_f64 v[28:29], v[92:93], v[138:139]
	v_add_f64 v[6:7], v[24:25], v[6:7]
	v_add_f64 v[24:25], v[134:135], -v[88:89]
	v_add_f64 v[20:21], v[36:37], v[20:21]
	v_mul_f64 v[154:155], v[154:155], s[10:11]
	v_fma_f64 v[197:198], v[96:97], s[36:37], v[152:153]
	v_fma_f64 v[96:97], v[96:97], s[38:39], v[152:153]
	v_add_f64 v[82:83], v[90:91], v[82:83]
	v_mul_f64 v[12:13], v[110:111], s[44:45]
	v_fma_f64 v[14:15], v[86:87], s[24:25], v[16:17]
	v_fma_f64 v[16:17], v[86:87], s[24:25], -v[16:17]
	v_add_f64 v[4:5], v[22:23], v[4:5]
	v_fma_f64 v[193:194], v[104:105], s[8:9], -v[203:204]
	v_add_f64 v[177:178], v[177:178], v[191:192]
	v_add_f64 v[122:123], v[189:190], v[183:184]
	;; [unrolled: 1-line block ×5, first 2 shown]
	v_mul_f64 v[130:131], v[112:113], s[28:29]
	v_mul_f64 v[156:157], v[158:159], s[28:29]
	v_add_f64 v[22:23], v[108:109], v[136:137]
	v_add_f64 v[6:7], v[28:29], v[6:7]
	v_add_f64 v[28:29], v[132:133], -v[102:103]
	v_add_f64 v[20:21], v[24:25], v[20:21]
	v_mul_f64 v[158:159], v[158:159], s[4:5]
	v_fma_f64 v[90:91], v[116:117], s[44:45], v[154:155]
	v_add_f64 v[82:83], v[96:97], v[82:83]
	v_mul_f64 v[32:33], v[124:125], s[42:43]
	v_fma_f64 v[34:35], v[104:105], s[10:11], v[12:13]
	v_fma_f64 v[12:13], v[104:105], s[10:11], -v[12:13]
	v_add_f64 v[4:5], v[16:17], v[4:5]
	v_fma_f64 v[201:202], v[104:105], s[8:9], v[203:204]
	v_add_f64 v[177:178], v[193:194], v[177:178]
	v_fma_f64 v[193:194], v[116:117], s[30:31], v[154:155]
	v_add_f64 v[94:95], v[197:198], v[122:123]
	v_add_f64 v[14:15], v[14:15], v[18:19]
	;; [unrolled: 1-line block ×6, first 2 shown]
	v_add_f64 v[30:31], v[130:131], -v[114:115]
	v_add_f64 v[20:21], v[28:29], v[20:21]
	v_fma_f64 v[18:19], v[126:127], s[42:43], v[158:159]
	v_add_f64 v[82:83], v[90:91], v[82:83]
	v_fma_f64 v[16:17], v[112:113], s[4:5], -v[32:33]
	v_add_f64 v[4:5], v[12:13], v[4:5]
	v_add_f64 v[187:188], v[201:202], v[187:188]
	v_fma_f64 v[191:192], v[126:127], s[26:27], v[158:159]
	v_add_f64 v[26:27], v[193:194], v[94:95]
	v_fma_f64 v[28:29], v[112:113], s[4:5], v[32:33]
	v_add_f64 v[32:33], v[34:35], v[14:15]
	v_add_f64 v[14:15], v[54:55], v[36:37]
	;; [unrolled: 1-line block ×8, first 2 shown]
	v_lshlrev_b32_e32 v0, 4, v212
	v_add_f64 v[177:178], v[185:186], v[187:188]
	v_add_f64 v[18:19], v[191:192], v[26:27]
	;; [unrolled: 1-line block ×3, first 2 shown]
	ds_write_b128 v0, v[12:15]
	ds_write_b128 v0, v[8:11] offset:16
	ds_write_b128 v0, v[4:7] offset:32
	ds_write_b128 v0, v[118:121] offset:48
	ds_write_b128 v0, v[172:175] offset:64
	ds_write_b128 v0, v[164:167] offset:80
	ds_write_b128 v0, v[60:63] offset:96
	ds_write_b128 v0, v[56:59] offset:112
	ds_write_b128 v0, v[160:163] offset:128
	ds_write_b128 v0, v[168:171] offset:144
	ds_write_b128 v0, v[177:180] offset:160
	ds_write_b128 v0, v[16:19] offset:176
	ds_write_b128 v0, v[213:216] offset:192
.LBB0_7:
	s_or_b64 exec, exec, s[16:17]
	s_movk_i32 s8, 0x138
	v_add_co_u32_e32 v60, vcc, s8, v217
	s_movk_i32 s8, 0x1d4
	v_add_co_u32_e32 v0, vcc, s8, v217
	s_movk_i32 s8, 0x4f
	v_mul_lo_u16_sdwa v1, v217, s8 dst_sel:DWORD dst_unused:UNUSED_PAD src0_sel:BYTE_0 src1_sel:DWORD
	v_lshrrev_b16_e32 v1, 10, v1
	v_mul_lo_u16_e32 v2, 13, v1
	v_sub_u16_e32 v2, v217, v2
	s_movk_i32 s16, 0x9c
	v_and_b32_e32 v2, 0xff, v2
	v_add_co_u32_e32 v48, vcc, s16, v217
	v_lshlrev_b32_e32 v3, 5, v2
	s_movk_i32 s8, 0x4ec5
	s_load_dwordx4 s[4:7], s[6:7], 0x0
	s_waitcnt lgkmcnt(0)
	s_barrier
	global_load_dwordx4 v[18:21], v3, s[2:3] offset:16
	global_load_dwordx4 v[12:15], v3, s[2:3]
	v_mul_u32_u24_sdwa v3, v48, s8 dst_sel:DWORD dst_unused:UNUSED_PAD src0_sel:WORD_0 src1_sel:DWORD
	v_lshrrev_b32_e32 v3, 18, v3
	v_mul_lo_u16_e32 v4, 13, v3
	v_sub_u16_e32 v4, v48, v4
	v_lshlrev_b16_e32 v5, 1, v4
	v_lshlrev_b32_e32 v5, 4, v5
	global_load_dwordx4 v[24:27], v5, s[2:3] offset:16
	global_load_dwordx4 v[28:31], v5, s[2:3]
	v_mul_u32_u24_sdwa v5, v60, s8 dst_sel:DWORD dst_unused:UNUSED_PAD src0_sel:WORD_0 src1_sel:DWORD
	v_lshrrev_b32_e32 v5, 18, v5
	v_mul_lo_u16_e32 v6, 13, v5
	v_sub_u16_e32 v6, v60, v6
	v_lshlrev_b16_e32 v7, 1, v6
	v_lshlrev_b32_e32 v7, 4, v7
	;; [unrolled: 8-line block ×3, first 2 shown]
	global_load_dwordx4 v[189:192], v8, s[2:3]
	global_load_dwordx4 v[185:188], v8, s[2:3] offset:16
	v_mov_b32_e32 v8, 4
	v_lshlrev_b32_sdwa v227, v8, v217 dst_sel:DWORD dst_unused:UNUSED_PAD src0_sel:DWORD src1_sel:WORD_0
	ds_read_b128 v[36:39], v227
	ds_read_b128 v[40:43], v227 offset:2496
	ds_read_b128 v[44:47], v227 offset:9984
	;; [unrolled: 1-line block ×11, first 2 shown]
	s_mov_b32 s8, 0xe8584caa
	s_mov_b32 s9, 0x3febb67a
	;; [unrolled: 1-line block ×4, first 2 shown]
	v_mul_u32_u24_e32 v1, 39, v1
	v_add_lshl_u32 v193, v1, v2, 4
	v_mad_legacy_u16 v1, v3, 39, v4
	v_mad_legacy_u16 v0, v7, 39, v0
	s_movk_i32 s17, 0xa5
	v_lshlrev_b32_e32 v228, 4, v1
	v_mad_legacy_u16 v1, v5, 39, v6
	v_lshlrev_b32_e32 v236, 4, v0
	v_mul_lo_u16_sdwa v0, v217, s17 dst_sel:DWORD dst_unused:UNUSED_PAD src0_sel:BYTE_0 src1_sel:DWORD
	v_lshlrev_b32_e32 v255, 4, v1
	v_sub_u16_sdwa v1, v217, v0 dst_sel:DWORD dst_unused:UNUSED_PAD src0_sel:DWORD src1_sel:BYTE_1
	v_lshrrev_b16_e32 v1, 1, v1
	v_and_b32_e32 v1, 0x7f, v1
	v_add_u16_sdwa v0, v1, v0 dst_sel:DWORD dst_unused:UNUSED_PAD src0_sel:DWORD src1_sel:BYTE_1
	v_lshrrev_b16_e32 v0, 5, v0
	v_and_b32_e32 v0, 7, v0
	v_mul_lo_u16_e32 v1, 39, v0
	v_sub_u16_e32 v1, v217, v1
	v_and_b32_e32 v1, 0xff, v1
	s_waitcnt vmcnt(0) lgkmcnt(0)
	s_barrier
	s_mov_b32 s17, 0xa41b
	v_mul_u32_u24_sdwa v2, v48, s17 dst_sel:DWORD dst_unused:UNUSED_PAD src0_sel:WORD_0 src1_sel:DWORD
	v_sub_u16_sdwa v3, v48, v2 dst_sel:DWORD dst_unused:UNUSED_PAD src0_sel:DWORD src1_sel:WORD_1
	v_lshrrev_b16_e32 v3, 1, v3
	v_add_u16_sdwa v2, v3, v2 dst_sel:DWORD dst_unused:UNUSED_PAD src0_sel:DWORD src1_sel:WORD_1
	v_lshrrev_b16_e32 v2, 5, v2
	v_mul_lo_u16_e32 v3, 39, v2
	v_sub_u16_e32 v3, v48, v3
	v_mul_lo_u16_e32 v4, 48, v3
	v_mov_b32_e32 v5, s3
	v_mul_u32_u24_sdwa v0, v0, s16 dst_sel:DWORD dst_unused:UNUSED_PAD src0_sel:WORD_0 src1_sel:DWORD
	v_mov_b32_e32 v121, s3
	v_add_lshl_u32 v198, v0, v1, 4
	v_mad_legacy_u16 v0, v2, s16, v3
	v_mov_b32_e32 v120, s2
	v_lshlrev_b32_e32 v199, 4, v0
	v_lshlrev_b32_e32 v229, 4, v217
	v_mul_f64 v[91:92], v[55:56], v[20:21]
	v_mul_f64 v[57:58], v[46:47], v[14:15]
	;; [unrolled: 1-line block ×8, first 2 shown]
	v_fma_f64 v[44:45], v[44:45], v[12:13], -v[57:58]
	v_fma_f64 v[46:47], v[46:47], v[12:13], v[89:90]
	v_fma_f64 v[53:54], v[53:54], v[18:19], -v[91:92]
	v_mul_f64 v[107:108], v[83:84], v[183:184]
	v_mul_f64 v[103:104], v[75:76], v[34:35]
	v_fma_f64 v[55:56], v[55:56], v[18:19], v[93:94]
	v_fma_f64 v[49:50], v[49:50], v[28:29], -v[95:96]
	v_fma_f64 v[51:52], v[51:52], v[28:29], v[97:98]
	v_fma_f64 v[63:64], v[63:64], v[24:25], v[101:102]
	v_fma_f64 v[57:58], v[61:62], v[24:25], -v[99:100]
	v_mul_f64 v[111:112], v[79:80], v[191:192]
	v_mul_f64 v[105:106], v[73:74], v[34:35]
	;; [unrolled: 1-line block ×6, first 2 shown]
	v_fma_f64 v[89:90], v[73:74], v[32:33], -v[103:104]
	v_fma_f64 v[81:82], v[81:82], v[181:182], -v[107:108]
	;; [unrolled: 1-line block ×3, first 2 shown]
	v_add_f64 v[73:74], v[44:45], v[53:54]
	v_add_f64 v[77:78], v[46:47], -v[55:56]
	v_add_f64 v[93:94], v[38:39], v[46:47]
	v_add_f64 v[46:47], v[46:47], v[55:56]
	;; [unrolled: 1-line block ×3, first 2 shown]
	v_add_f64 v[99:100], v[51:52], -v[63:64]
	v_add_f64 v[101:102], v[42:43], v[51:52]
	v_add_f64 v[51:52], v[51:52], v[63:64]
	;; [unrolled: 1-line block ×3, first 2 shown]
	v_add_f64 v[95:96], v[44:45], -v[53:54]
	v_add_f64 v[44:45], v[49:50], v[57:58]
	v_fma_f64 v[75:76], v[75:76], v[32:33], v[105:106]
	v_fma_f64 v[83:84], v[83:84], v[181:182], v[109:110]
	;; [unrolled: 1-line block ×3, first 2 shown]
	v_fma_f64 v[85:86], v[85:86], v[185:186], -v[115:116]
	v_fma_f64 v[87:88], v[87:88], v[185:186], v[117:118]
	v_fma_f64 v[73:74], v[73:74], -0.5, v[36:37]
	v_add_f64 v[103:104], v[49:50], -v[57:58]
	v_fma_f64 v[46:47], v[46:47], -0.5, v[38:39]
	v_add_f64 v[105:106], v[89:90], v[81:82]
	v_add_f64 v[38:39], v[93:94], v[55:56]
	v_fma_f64 v[93:94], v[51:52], -0.5, v[42:43]
	v_add_f64 v[49:50], v[97:98], v[57:58]
	v_add_f64 v[57:58], v[65:66], v[89:90]
	;; [unrolled: 1-line block ×3, first 2 shown]
	v_fma_f64 v[61:62], v[44:45], -0.5, v[40:41]
	v_fma_f64 v[40:41], v[77:78], s[8:9], v[73:74]
	v_fma_f64 v[44:45], v[77:78], s[10:11], v[73:74]
	;; [unrolled: 1-line block ×4, first 2 shown]
	v_fma_f64 v[77:78], v[105:106], -0.5, v[65:66]
	v_add_f64 v[95:96], v[75:76], -v[83:84]
	v_add_f64 v[51:52], v[101:102], v[63:64]
	v_fma_f64 v[55:56], v[103:104], s[10:11], v[93:94]
	v_add_f64 v[97:98], v[75:76], v[83:84]
	v_fma_f64 v[63:64], v[103:104], s[8:9], v[93:94]
	v_add_f64 v[65:66], v[57:58], v[81:82]
	v_add_f64 v[57:58], v[91:92], v[85:86]
	v_add_f64 v[93:94], v[79:80], v[87:88]
	v_fma_f64 v[53:54], v[99:100], s[8:9], v[61:62]
	v_fma_f64 v[61:62], v[99:100], s[10:11], v[61:62]
	v_add_f64 v[75:76], v[67:68], v[75:76]
	v_add_f64 v[81:82], v[89:90], -v[81:82]
	v_add_f64 v[89:90], v[69:70], v[91:92]
	v_add_f64 v[99:100], v[71:72], v[79:80]
	v_fma_f64 v[73:74], v[95:96], s[8:9], v[77:78]
	v_fma_f64 v[77:78], v[95:96], s[10:11], v[77:78]
	v_fma_f64 v[95:96], v[97:98], -0.5, v[67:68]
	v_fma_f64 v[57:58], v[57:58], -0.5, v[69:70]
	v_add_f64 v[97:98], v[79:80], -v[87:88]
	v_fma_f64 v[93:94], v[93:94], -0.5, v[71:72]
	v_add_f64 v[91:92], v[91:92], -v[85:86]
	v_add_f64 v[67:68], v[75:76], v[83:84]
	v_add_f64 v[69:70], v[89:90], v[85:86]
	;; [unrolled: 1-line block ×3, first 2 shown]
	v_fma_f64 v[75:76], v[81:82], s[10:11], v[95:96]
	v_fma_f64 v[79:80], v[81:82], s[8:9], v[95:96]
	;; [unrolled: 1-line block ×6, first 2 shown]
	ds_write_b128 v193, v[36:39]
	ds_write_b128 v193, v[40:43] offset:208
	ds_write_b128 v193, v[44:47] offset:416
	ds_write_b128 v228, v[49:52]
	ds_write_b128 v228, v[53:56] offset:208
	ds_write_b128 v228, v[61:64] offset:416
	v_mad_u64_u32 v[49:50], s[18:19], v1, 48, s[2:3]
	ds_write_b128 v255, v[65:68]
	ds_write_b128 v255, v[73:76] offset:208
	ds_write_b128 v255, v[77:80] offset:416
	ds_write_b128 v236, v[69:72]
	ds_write_b128 v236, v[81:84] offset:208
	ds_write_b128 v236, v[85:88] offset:416
	s_waitcnt lgkmcnt(0)
	s_barrier
	global_load_dwordx4 v[194:197], v[49:50], off offset:448
	global_load_dwordx4 v[40:43], v[49:50], off offset:432
	;; [unrolled: 1-line block ×3, first 2 shown]
	v_add_co_u32_e32 v61, vcc, s2, v4
	v_mul_u32_u24_sdwa v4, v60, s17 dst_sel:DWORD dst_unused:UNUSED_PAD src0_sel:WORD_0 src1_sel:DWORD
	v_addc_co_u32_e32 v62, vcc, 0, v5, vcc
	v_sub_u16_sdwa v6, v60, v4 dst_sel:DWORD dst_unused:UNUSED_PAD src0_sel:DWORD src1_sel:WORD_1
	global_load_dwordx4 v[56:59], v[61:62], off offset:416
	global_load_dwordx4 v[52:55], v[61:62], off offset:432
	;; [unrolled: 1-line block ×3, first 2 shown]
	v_lshrrev_b16_e32 v6, 1, v6
	v_add_u16_sdwa v4, v6, v4 dst_sel:DWORD dst_unused:UNUSED_PAD src0_sel:DWORD src1_sel:WORD_1
	v_lshrrev_b16_e32 v4, 5, v4
	v_mul_lo_u16_e32 v6, 39, v4
	v_sub_u16_e32 v6, v60, v6
	v_mul_lo_u16_e32 v7, 48, v6
	v_add_co_u32_e32 v72, vcc, s2, v7
	v_addc_co_u32_e32 v73, vcc, 0, v5, vcc
	global_load_dwordx4 v[68:71], v[72:73], off offset:416
	global_load_dwordx4 v[64:67], v[72:73], off offset:432
	;; [unrolled: 1-line block ×3, first 2 shown]
	ds_read_b128 v[72:75], v227
	ds_read_b128 v[76:79], v227 offset:2496
	ds_read_b128 v[80:83], v227 offset:14976
	;; [unrolled: 1-line block ×11, first 2 shown]
	s_movk_i32 s2, 0x50
	s_waitcnt vmcnt(0) lgkmcnt(0)
	s_barrier
	v_mad_legacy_u16 v0, v4, s16, v6
	v_lshlrev_b32_e32 v200, 4, v0
	v_lshlrev_b32_e32 v0, 6, v217
	v_mul_f64 v[130:131], v[106:107], v[196:197]
	v_mul_f64 v[126:127], v[82:83], v[42:43]
	;; [unrolled: 1-line block ×7, first 2 shown]
	v_fma_f64 v[104:105], v[104:105], v[194:195], -v[130:131]
	v_fma_f64 v[80:81], v[80:81], v[40:41], -v[126:127]
	;; [unrolled: 1-line block ×3, first 2 shown]
	v_fma_f64 v[90:91], v[90:91], v[44:45], v[124:125]
	v_fma_f64 v[82:83], v[82:83], v[40:41], v[128:129]
	;; [unrolled: 1-line block ×3, first 2 shown]
	v_mul_f64 v[122:123], v[86:87], v[54:55]
	v_mul_f64 v[124:125], v[84:85], v[54:55]
	;; [unrolled: 1-line block ×4, first 2 shown]
	v_add_f64 v[130:131], v[72:73], -v[80:81]
	v_add_f64 v[104:105], v[88:89], -v[104:105]
	;; [unrolled: 1-line block ×4, first 2 shown]
	v_mul_f64 v[136:137], v[96:97], v[58:59]
	v_fma_f64 v[122:123], v[84:85], v[52:53], -v[122:123]
	v_fma_f64 v[124:125], v[86:87], v[52:53], v[124:125]
	v_fma_f64 v[112:113], v[112:113], v[48:49], -v[126:127]
	v_fma_f64 v[114:115], v[114:115], v[48:49], v[128:129]
	v_fma_f64 v[80:81], v[72:73], 2.0, -v[130:131]
	v_fma_f64 v[82:83], v[74:75], 2.0, -v[132:133]
	;; [unrolled: 1-line block ×4, first 2 shown]
	v_mul_f64 v[84:85], v[102:103], v[70:71]
	v_mul_f64 v[86:87], v[100:101], v[70:71]
	;; [unrolled: 1-line block ×6, first 2 shown]
	v_fma_f64 v[96:97], v[96:97], v[56:57], -v[134:135]
	v_fma_f64 v[98:99], v[98:99], v[56:57], v[136:137]
	v_fma_f64 v[100:101], v[100:101], v[68:69], -v[84:85]
	v_fma_f64 v[102:103], v[102:103], v[68:69], v[86:87]
	;; [unrolled: 2-line block ×4, first 2 shown]
	v_add_f64 v[84:85], v[130:131], -v[106:107]
	v_add_f64 v[86:87], v[132:133], v[104:105]
	v_add_f64 v[116:117], v[76:77], -v[122:123]
	v_add_f64 v[118:119], v[78:79], -v[124:125]
	;; [unrolled: 1-line block ×8, first 2 shown]
	v_fma_f64 v[112:113], v[76:77], 2.0, -v[116:117]
	v_fma_f64 v[114:115], v[78:79], 2.0, -v[118:119]
	;; [unrolled: 1-line block ×8, first 2 shown]
	v_add_f64 v[72:73], v[80:81], -v[72:73]
	v_add_f64 v[74:75], v[82:83], -v[74:75]
	;; [unrolled: 1-line block ×5, first 2 shown]
	v_add_f64 v[94:95], v[118:119], v[104:105]
	v_add_f64 v[96:97], v[126:127], -v[96:97]
	v_add_f64 v[98:99], v[128:129], -v[98:99]
	v_add_f64 v[100:101], v[122:123], -v[110:111]
	v_add_f64 v[102:103], v[124:125], v[108:109]
	v_fma_f64 v[80:81], v[80:81], 2.0, -v[72:73]
	v_fma_f64 v[82:83], v[82:83], 2.0, -v[74:75]
	;; [unrolled: 1-line block ×12, first 2 shown]
	ds_write_b128 v198, v[80:83]
	ds_write_b128 v198, v[76:79] offset:624
	ds_write_b128 v198, v[72:75] offset:1248
	;; [unrolled: 1-line block ×3, first 2 shown]
	ds_write_b128 v199, v[104:107]
	ds_write_b128 v199, v[108:111] offset:624
	ds_write_b128 v199, v[88:91] offset:1248
	;; [unrolled: 1-line block ×3, first 2 shown]
	v_mad_u64_u32 v[92:93], s[2:3], v217, s2, v[120:121]
	ds_write_b128 v200, v[112:115]
	ds_write_b128 v200, v[116:119] offset:624
	ds_write_b128 v200, v[96:99] offset:1248
	;; [unrolled: 1-line block ×3, first 2 shown]
	s_waitcnt lgkmcnt(0)
	s_barrier
	global_load_dwordx4 v[88:91], v[92:93], off offset:2288
	global_load_dwordx4 v[84:87], v[92:93], off offset:2304
	;; [unrolled: 1-line block ×5, first 2 shown]
	ds_read_b128 v[94:97], v227
	ds_read_b128 v[98:101], v227 offset:2496
	ds_read_b128 v[102:105], v227 offset:4992
	;; [unrolled: 1-line block ×11, first 2 shown]
	v_sub_co_u32_e32 v0, vcc, v92, v0
	v_subbrev_co_u32_e32 v1, vcc, 0, v93, vcc
	s_movk_i32 s2, 0x3000
	v_add_co_u32_e32 v92, vcc, s2, v0
	v_addc_co_u32_e32 v93, vcc, 0, v1, vcc
	s_movk_i32 s2, 0x4000
	s_waitcnt vmcnt(0) lgkmcnt(0)
	s_barrier
	v_mul_f64 v[142:143], v[104:105], v[90:91]
	v_mul_f64 v[144:145], v[102:103], v[90:91]
	;; [unrolled: 1-line block ×5, first 2 shown]
	v_fma_f64 v[102:103], v[102:103], v[88:89], -v[142:143]
	v_fma_f64 v[104:105], v[104:105], v[88:89], v[144:145]
	v_mul_f64 v[142:143], v[118:119], v[82:83]
	v_mul_f64 v[144:145], v[128:129], v[78:79]
	v_fma_f64 v[110:111], v[110:111], v[84:85], -v[146:147]
	v_mul_f64 v[146:147], v[126:127], v[78:79]
	v_fma_f64 v[112:113], v[112:113], v[84:85], v[148:149]
	v_fma_f64 v[118:119], v[118:119], v[80:81], -v[150:151]
	v_mul_f64 v[148:149], v[136:137], v[74:75]
	v_mul_f64 v[150:151], v[134:135], v[74:75]
	v_fma_f64 v[120:121], v[120:121], v[80:81], v[142:143]
	v_fma_f64 v[126:127], v[126:127], v[76:77], -v[144:145]
	v_mul_f64 v[142:143], v[108:109], v[90:91]
	v_mul_f64 v[144:145], v[106:107], v[90:91]
	v_fma_f64 v[128:129], v[128:129], v[76:77], v[146:147]
	v_mul_f64 v[146:147], v[116:117], v[86:87]
	v_fma_f64 v[134:135], v[134:135], v[72:73], -v[148:149]
	v_fma_f64 v[136:137], v[136:137], v[72:73], v[150:151]
	v_mul_f64 v[148:149], v[114:115], v[86:87]
	v_mul_f64 v[150:151], v[124:125], v[82:83]
	v_fma_f64 v[142:143], v[106:107], v[88:89], -v[142:143]
	v_mul_f64 v[106:107], v[122:123], v[82:83]
	v_fma_f64 v[144:145], v[108:109], v[88:89], v[144:145]
	v_mul_f64 v[108:109], v[132:133], v[78:79]
	v_fma_f64 v[146:147], v[114:115], v[84:85], -v[146:147]
	v_mul_f64 v[114:115], v[130:131], v[78:79]
	v_fma_f64 v[116:117], v[116:117], v[84:85], v[148:149]
	v_fma_f64 v[122:123], v[122:123], v[80:81], -v[150:151]
	v_add_f64 v[148:149], v[110:111], v[126:127]
	v_fma_f64 v[124:125], v[124:125], v[80:81], v[106:107]
	v_add_f64 v[106:107], v[118:119], v[134:135]
	v_add_f64 v[150:151], v[120:121], v[136:137]
	v_fma_f64 v[130:131], v[130:131], v[76:77], -v[108:109]
	v_mul_f64 v[108:109], v[140:141], v[74:75]
	v_fma_f64 v[132:133], v[132:133], v[76:77], v[114:115]
	v_add_f64 v[114:115], v[94:95], v[110:111]
	v_fma_f64 v[94:95], v[148:149], -0.5, v[94:95]
	v_add_f64 v[148:149], v[112:113], -v[128:129]
	v_fma_f64 v[106:107], v[106:107], -0.5, v[102:103]
	v_fma_f64 v[150:151], v[150:151], -0.5, v[104:105]
	v_add_f64 v[152:153], v[118:119], -v[134:135]
	v_add_f64 v[154:155], v[120:121], -v[136:137]
	v_fma_f64 v[156:157], v[138:139], v[72:73], -v[108:109]
	v_mul_f64 v[108:109], v[138:139], v[74:75]
	v_add_f64 v[138:139], v[112:113], v[128:129]
	v_fma_f64 v[158:159], v[148:149], s[8:9], v[94:95]
	v_fma_f64 v[148:149], v[148:149], s[10:11], v[94:95]
	v_add_f64 v[112:113], v[96:97], v[112:113]
	v_fma_f64 v[94:95], v[152:153], s[10:11], v[150:151]
	v_fma_f64 v[160:161], v[154:155], s[10:11], v[106:107]
	v_add_f64 v[114:115], v[114:115], v[126:127]
	v_fma_f64 v[106:107], v[154:155], s[8:9], v[106:107]
	v_fma_f64 v[96:97], v[138:139], -0.5, v[96:97]
	v_fma_f64 v[138:139], v[152:153], s[8:9], v[150:151]
	v_add_f64 v[110:111], v[110:111], -v[126:127]
	v_add_f64 v[102:103], v[102:103], v[118:119]
	v_mul_f64 v[118:119], v[94:95], s[8:9]
	v_mul_f64 v[126:127], v[160:161], -0.5
	v_add_f64 v[112:113], v[112:113], v[128:129]
	v_fma_f64 v[140:141], v[140:141], v[72:73], v[108:109]
	v_add_f64 v[104:105], v[104:105], v[120:121]
	v_mul_f64 v[128:129], v[138:139], -0.5
	v_mul_f64 v[120:121], v[106:107], s[10:11]
	v_add_f64 v[134:135], v[102:103], v[134:135]
	v_fma_f64 v[118:119], v[106:107], 0.5, v[118:119]
	v_fma_f64 v[126:127], v[138:139], s[8:9], v[126:127]
	v_add_f64 v[152:153], v[146:147], v[130:131]
	v_add_f64 v[154:155], v[122:123], v[156:157]
	v_fma_f64 v[150:151], v[110:111], s[10:11], v[96:97]
	v_fma_f64 v[128:129], v[160:161], s[10:11], v[128:129]
	v_add_f64 v[160:161], v[124:125], v[140:141]
	v_fma_f64 v[120:121], v[94:95], 0.5, v[120:121]
	v_fma_f64 v[138:139], v[110:111], s[8:9], v[96:97]
	v_add_f64 v[94:95], v[114:115], v[134:135]
	v_add_f64 v[102:103], v[158:159], v[118:119]
	;; [unrolled: 1-line block ×3, first 2 shown]
	v_add_f64 v[110:111], v[114:115], -v[134:135]
	v_add_f64 v[114:115], v[158:159], -v[118:119]
	;; [unrolled: 1-line block ×3, first 2 shown]
	v_add_f64 v[126:127], v[98:99], v[146:147]
	v_fma_f64 v[98:99], v[152:153], -0.5, v[98:99]
	v_add_f64 v[134:135], v[116:117], -v[132:133]
	v_fma_f64 v[148:149], v[154:155], -0.5, v[142:143]
	v_fma_f64 v[152:153], v[160:161], -0.5, v[144:145]
	v_add_f64 v[154:155], v[122:123], -v[156:157]
	v_add_f64 v[158:159], v[124:125], -v[140:141]
	v_add_f64 v[136:137], v[104:105], v[136:137]
	v_add_f64 v[160:161], v[116:117], v[132:133]
	;; [unrolled: 1-line block ×3, first 2 shown]
	v_fma_f64 v[162:163], v[134:135], s[8:9], v[98:99]
	v_fma_f64 v[164:165], v[134:135], s[10:11], v[98:99]
	v_add_f64 v[124:125], v[144:145], v[124:125]
	v_fma_f64 v[98:99], v[154:155], s[10:11], v[152:153]
	v_fma_f64 v[134:135], v[158:159], s[8:9], v[148:149]
	v_add_f64 v[96:97], v[112:113], v[136:137]
	v_add_f64 v[112:113], v[112:113], -v[136:137]
	v_add_f64 v[136:137], v[126:127], v[130:131]
	v_fma_f64 v[126:127], v[158:159], s[10:11], v[148:149]
	v_fma_f64 v[148:149], v[154:155], s[8:9], v[152:153]
	v_fma_f64 v[100:101], v[160:161], -0.5, v[100:101]
	v_add_f64 v[130:131], v[146:147], -v[130:131]
	v_add_f64 v[132:133], v[116:117], v[132:133]
	v_add_f64 v[116:117], v[142:143], v[122:123]
	v_mul_f64 v[122:123], v[98:99], s[8:9]
	v_mul_f64 v[144:145], v[134:135], s[10:11]
	v_mul_f64 v[142:143], v[126:127], -0.5
	v_mul_f64 v[146:147], v[148:149], -0.5
	v_add_f64 v[140:141], v[124:125], v[140:141]
	v_fma_f64 v[152:153], v[130:131], s[10:11], v[100:101]
	v_fma_f64 v[154:155], v[130:131], s[8:9], v[100:101]
	v_add_f64 v[130:131], v[116:117], v[156:157]
	v_fma_f64 v[134:135], v[134:135], 0.5, v[122:123]
	v_fma_f64 v[144:145], v[98:99], 0.5, v[144:145]
	v_fma_f64 v[142:143], v[148:149], s[8:9], v[142:143]
	v_fma_f64 v[146:147], v[126:127], s[10:11], v[146:147]
	v_add_f64 v[104:105], v[150:151], v[120:121]
	v_add_f64 v[108:109], v[138:139], v[128:129]
	v_add_f64 v[116:117], v[150:151], -v[120:121]
	v_add_f64 v[120:121], v[138:139], -v[128:129]
	v_add_f64 v[98:99], v[136:137], v[130:131]
	v_add_f64 v[100:101], v[132:133], v[140:141]
	;; [unrolled: 1-line block ×6, first 2 shown]
	v_add_f64 v[130:131], v[136:137], -v[130:131]
	v_add_f64 v[134:135], v[162:163], -v[134:135]
	;; [unrolled: 1-line block ×6, first 2 shown]
	ds_write_b128 v227, v[94:97]
	ds_write_b128 v227, v[102:105] offset:2496
	ds_write_b128 v227, v[106:109] offset:4992
	;; [unrolled: 1-line block ×11, first 2 shown]
	v_add_co_u32_e32 v104, vcc, s2, v0
	s_waitcnt lgkmcnt(0)
	s_barrier
	v_addc_co_u32_e32 v105, vcc, 0, v1, vcc
	global_load_dwordx4 v[92:95], v[92:93], off offset:2480
	s_nop 0
	global_load_dwordx4 v[96:99], v[104:105], off offset:880
	global_load_dwordx4 v[100:103], v[104:105], off offset:3376
	s_movk_i32 s2, 0x5000
	v_add_co_u32_e32 v104, vcc, s2, v0
	v_addc_co_u32_e32 v105, vcc, 0, v1, vcc
	s_movk_i32 s2, 0x6000
	v_add_co_u32_e32 v112, vcc, s2, v0
	v_addc_co_u32_e32 v113, vcc, 0, v1, vcc
	global_load_dwordx4 v[108:111], v[104:105], off offset:1776
	s_nop 0
	global_load_dwordx4 v[104:107], v[112:113], off offset:176
	s_nop 0
	global_load_dwordx4 v[112:115], v[112:113], off offset:2672
	ds_read_b128 v[116:119], v227
	ds_read_b128 v[128:131], v227 offset:2496
	ds_read_b128 v[120:123], v227 offset:14976
	;; [unrolled: 1-line block ×11, first 2 shown]
	s_waitcnt vmcnt(5) lgkmcnt(9)
	v_mul_f64 v[164:165], v[122:123], v[94:95]
	v_mul_f64 v[166:167], v[120:121], v[94:95]
	s_waitcnt vmcnt(4) lgkmcnt(8)
	v_mul_f64 v[168:169], v[126:127], v[98:99]
	v_mul_f64 v[170:171], v[124:125], v[98:99]
	;; [unrolled: 3-line block ×3, first 2 shown]
	v_fma_f64 v[120:121], v[120:121], v[92:93], -v[164:165]
	v_fma_f64 v[122:123], v[122:123], v[92:93], v[166:167]
	v_fma_f64 v[124:125], v[124:125], v[96:97], -v[168:169]
	v_fma_f64 v[126:127], v[126:127], v[96:97], v[170:171]
	v_fma_f64 v[132:133], v[132:133], v[100:101], -v[172:173]
	s_waitcnt vmcnt(2) lgkmcnt(4)
	v_mul_f64 v[177:178], v[138:139], v[110:111]
	v_mul_f64 v[179:180], v[136:137], v[110:111]
	s_waitcnt vmcnt(1) lgkmcnt(1)
	v_mul_f64 v[164:165], v[142:143], v[106:107]
	v_mul_f64 v[166:167], v[140:141], v[106:107]
	;; [unrolled: 3-line block ×3, first 2 shown]
	v_fma_f64 v[134:135], v[134:135], v[100:101], v[174:175]
	v_add_f64 v[120:121], v[116:117], -v[120:121]
	v_fma_f64 v[136:137], v[136:137], v[108:109], -v[177:178]
	v_fma_f64 v[138:139], v[138:139], v[108:109], v[179:180]
	v_fma_f64 v[140:141], v[140:141], v[104:105], -v[164:165]
	v_fma_f64 v[142:143], v[142:143], v[104:105], v[166:167]
	v_fma_f64 v[156:157], v[156:157], v[112:113], -v[168:169]
	v_fma_f64 v[158:159], v[158:159], v[112:113], v[170:171]
	v_add_f64 v[122:123], v[118:119], -v[122:123]
	v_add_f64 v[124:125], v[128:129], -v[124:125]
	;; [unrolled: 1-line block ×11, first 2 shown]
	v_fma_f64 v[116:117], v[116:117], 2.0, -v[120:121]
	v_fma_f64 v[118:119], v[118:119], 2.0, -v[122:123]
	;; [unrolled: 1-line block ×12, first 2 shown]
	ds_write_b128 v227, v[116:119]
	ds_write_b128 v227, v[120:123] offset:14976
	ds_write_b128 v227, v[128:131] offset:2496
	;; [unrolled: 1-line block ×11, first 2 shown]
	s_waitcnt lgkmcnt(0)
	s_barrier
	s_and_saveexec_b64 s[2:3], s[0:1]
	s_cbranch_execz .LBB0_9
; %bb.8:
	v_add_co_u32_e32 v164, vcc, s14, v176
	v_mov_b32_e32 v0, s15
	v_addc_co_u32_e32 v165, vcc, 0, v0, vcc
	v_add_co_u32_e32 v174, vcc, 0x7500, v164
	v_addc_co_u32_e32 v175, vcc, 0, v165, vcc
	v_add_co_u32_e32 v170, vcc, 0x7000, v164
	v_addc_co_u32_e32 v171, vcc, 0, v165, vcc
	global_load_dwordx4 v[170:173], v[170:171], off offset:1280
	ds_read_b128 v[166:169], v227
	s_mov_b32 s8, 0x8000
	s_waitcnt vmcnt(0) lgkmcnt(0)
	v_mul_f64 v[177:178], v[168:169], v[172:173]
	v_fma_f64 v[177:178], v[166:167], v[170:171], -v[177:178]
	v_mul_f64 v[166:167], v[166:167], v[172:173]
	v_fma_f64 v[179:180], v[168:169], v[170:171], v[166:167]
	global_load_dwordx4 v[170:173], v[174:175], off offset:2304
	ds_write_b128 v227, v[177:180]
	ds_read_b128 v[166:169], v229 offset:2304
	s_waitcnt vmcnt(0) lgkmcnt(0)
	v_mul_f64 v[174:175], v[168:169], v[172:173]
	v_fma_f64 v[177:178], v[166:167], v[170:171], -v[174:175]
	v_mul_f64 v[166:167], v[166:167], v[172:173]
	v_fma_f64 v[179:180], v[168:169], v[170:171], v[166:167]
	v_add_co_u32_e32 v170, vcc, s8, v164
	v_addc_co_u32_e32 v171, vcc, 0, v165, vcc
	global_load_dwordx4 v[170:173], v[170:171], off offset:1792
	ds_read_b128 v[166:169], v229 offset:4608
	s_mov_b32 s8, 0x9000
	ds_write_b128 v229, v[177:180] offset:2304
	s_waitcnt vmcnt(0) lgkmcnt(1)
	v_mul_f64 v[174:175], v[168:169], v[172:173]
	v_fma_f64 v[177:178], v[166:167], v[170:171], -v[174:175]
	v_mul_f64 v[166:167], v[166:167], v[172:173]
	v_add_co_u32_e32 v174, vcc, s8, v164
	v_addc_co_u32_e32 v175, vcc, 0, v165, vcc
	s_mov_b32 s8, 0xa000
	v_fma_f64 v[179:180], v[168:169], v[170:171], v[166:167]
	global_load_dwordx4 v[170:173], v[174:175], off
	ds_read_b128 v[166:169], v229 offset:6912
	ds_write_b128 v229, v[177:180] offset:4608
	s_waitcnt vmcnt(0) lgkmcnt(1)
	v_mul_f64 v[177:178], v[168:169], v[172:173]
	v_fma_f64 v[177:178], v[166:167], v[170:171], -v[177:178]
	v_mul_f64 v[166:167], v[166:167], v[172:173]
	v_fma_f64 v[179:180], v[168:169], v[170:171], v[166:167]
	global_load_dwordx4 v[170:173], v[174:175], off offset:2304
	ds_read_b128 v[166:169], v229 offset:9216
	ds_write_b128 v229, v[177:180] offset:6912
	s_waitcnt vmcnt(0) lgkmcnt(1)
	v_mul_f64 v[174:175], v[168:169], v[172:173]
	v_fma_f64 v[177:178], v[166:167], v[170:171], -v[174:175]
	v_mul_f64 v[166:167], v[166:167], v[172:173]
	v_add_co_u32_e32 v174, vcc, s8, v164
	v_addc_co_u32_e32 v175, vcc, 0, v165, vcc
	s_mov_b32 s8, 0xb000
	v_fma_f64 v[179:180], v[168:169], v[170:171], v[166:167]
	global_load_dwordx4 v[170:173], v[174:175], off offset:512
	ds_read_b128 v[166:169], v229 offset:11520
	ds_write_b128 v229, v[177:180] offset:9216
	s_waitcnt vmcnt(0) lgkmcnt(1)
	v_mul_f64 v[177:178], v[168:169], v[172:173]
	v_fma_f64 v[177:178], v[166:167], v[170:171], -v[177:178]
	v_mul_f64 v[166:167], v[166:167], v[172:173]
	v_fma_f64 v[179:180], v[168:169], v[170:171], v[166:167]
	global_load_dwordx4 v[170:173], v[174:175], off offset:2816
	ds_read_b128 v[166:169], v229 offset:13824
	ds_write_b128 v229, v[177:180] offset:11520
	s_waitcnt vmcnt(0) lgkmcnt(1)
	v_mul_f64 v[174:175], v[168:169], v[172:173]
	v_fma_f64 v[177:178], v[166:167], v[170:171], -v[174:175]
	v_mul_f64 v[166:167], v[166:167], v[172:173]
	v_add_co_u32_e32 v174, vcc, s8, v164
	v_addc_co_u32_e32 v175, vcc, 0, v165, vcc
	s_mov_b32 s8, 0xc000
	v_fma_f64 v[179:180], v[168:169], v[170:171], v[166:167]
	global_load_dwordx4 v[170:173], v[174:175], off offset:1024
	;; [unrolled: 19-line block ×3, first 2 shown]
	ds_read_b128 v[166:169], v229 offset:20736
	ds_write_b128 v229, v[177:180] offset:18432
	s_waitcnt vmcnt(0) lgkmcnt(1)
	v_mul_f64 v[177:178], v[168:169], v[172:173]
	v_fma_f64 v[177:178], v[166:167], v[170:171], -v[177:178]
	v_mul_f64 v[166:167], v[166:167], v[172:173]
	v_fma_f64 v[179:180], v[168:169], v[170:171], v[166:167]
	global_load_dwordx4 v[170:173], v[174:175], off offset:3840
	ds_read_b128 v[166:169], v229 offset:23040
	ds_write_b128 v229, v[177:180] offset:20736
	s_waitcnt vmcnt(0) lgkmcnt(1)
	v_mul_f64 v[174:175], v[168:169], v[172:173]
	v_fma_f64 v[177:178], v[166:167], v[170:171], -v[174:175]
	v_mul_f64 v[166:167], v[166:167], v[172:173]
	v_fma_f64 v[179:180], v[168:169], v[170:171], v[166:167]
	v_add_co_u32_e32 v170, vcc, s8, v164
	v_addc_co_u32_e32 v171, vcc, 0, v165, vcc
	global_load_dwordx4 v[170:173], v[170:171], off offset:2048
	ds_read_b128 v[166:169], v229 offset:25344
	s_mov_b32 s8, 0xe000
	ds_write_b128 v229, v[177:180] offset:23040
	v_add_co_u32_e32 v164, vcc, s8, v164
	v_addc_co_u32_e32 v165, vcc, 0, v165, vcc
	s_waitcnt vmcnt(0) lgkmcnt(1)
	v_mul_f64 v[174:175], v[168:169], v[172:173]
	v_fma_f64 v[177:178], v[166:167], v[170:171], -v[174:175]
	v_mul_f64 v[166:167], v[166:167], v[172:173]
	v_fma_f64 v[179:180], v[168:169], v[170:171], v[166:167]
	global_load_dwordx4 v[170:173], v[164:165], off offset:256
	ds_read_b128 v[166:169], v229 offset:27648
	ds_write_b128 v229, v[177:180] offset:25344
	s_waitcnt vmcnt(0) lgkmcnt(1)
	v_mul_f64 v[164:165], v[168:169], v[172:173]
	v_fma_f64 v[164:165], v[166:167], v[170:171], -v[164:165]
	v_mul_f64 v[166:167], v[166:167], v[172:173]
	v_fma_f64 v[166:167], v[168:169], v[170:171], v[166:167]
	ds_write_b128 v229, v[164:167] offset:27648
.LBB0_9:
	s_or_b64 exec, exec, s[2:3]
	s_waitcnt lgkmcnt(0)
	s_barrier
	s_and_saveexec_b64 s[2:3], s[0:1]
	s_cbranch_execz .LBB0_11
; %bb.10:
	ds_read_b128 v[116:119], v227
	ds_read_b128 v[120:123], v227 offset:2304
	ds_read_b128 v[128:131], v227 offset:4608
	;; [unrolled: 1-line block ×12, first 2 shown]
.LBB0_11:
	s_or_b64 exec, exec, s[2:3]
	s_waitcnt lgkmcnt(0)
	s_barrier
	s_and_saveexec_b64 s[2:3], s[0:1]
	s_cbranch_execz .LBB0_13
; %bb.12:
	v_add_f64 v[223:224], v[120:121], -v[213:214]
	s_mov_b32 s20, 0x4bc48dbf
	s_mov_b32 s21, 0xbfcea1e5
	buffer_store_dword v189, off, s[52:55], 0 offset:24 ; 4-byte Folded Spill
	s_nop 0
	buffer_store_dword v190, off, s[52:55], 0 offset:28 ; 4-byte Folded Spill
	buffer_store_dword v191, off, s[52:55], 0 offset:32 ; 4-byte Folded Spill
	;; [unrolled: 1-line block ×3, first 2 shown]
	v_add_f64 v[221:222], v[128:129], -v[156:157]
	v_add_f64 v[191:192], v[215:216], v[122:123]
	s_mov_b32 s18, 0x93053d00
	v_add_f64 v[2:3], v[132:133], -v[152:153]
	v_mul_f64 v[172:173], v[223:224], s[20:21]
	buffer_store_dword v194, off, s[52:55], 0 offset:48 ; 4-byte Folded Spill
	s_nop 0
	buffer_store_dword v195, off, s[52:55], 0 offset:52 ; 4-byte Folded Spill
	buffer_store_dword v196, off, s[52:55], 0 offset:56 ; 4-byte Folded Spill
	;; [unrolled: 1-line block ×3, first 2 shown]
	s_mov_b32 s23, 0x3fddbe06
	s_mov_b32 s22, 0x4267c47c
	buffer_store_dword v185, off, s[52:55], 0 offset:8 ; 4-byte Folded Spill
	s_nop 0
	buffer_store_dword v186, off, s[52:55], 0 offset:12 ; 4-byte Folded Spill
	buffer_store_dword v187, off, s[52:55], 0 offset:16 ; 4-byte Folded Spill
	;; [unrolled: 1-line block ×3, first 2 shown]
	s_mov_b32 s19, 0xbfef11f4
	v_add_f64 v[195:196], v[124:125], -v[160:161]
	v_mul_f64 v[174:175], v[221:222], s[22:23]
	v_add_f64 v[187:188], v[158:159], v[130:131]
	buffer_store_dword v193, off, s[52:55], 0 offset:40 ; 4-byte Folded Spill
	v_fma_f64 v[193:194], v[191:192], s[18:19], v[172:173]
	v_add_f64 v[203:204], v[122:123], -v[215:216]
	s_mov_b32 s16, 0x2ef20147
	s_mov_b32 s28, 0x24c2f84
	;; [unrolled: 1-line block ×4, first 2 shown]
	v_mov_b32_e32 v7, v3
	s_mov_b32 s29, 0xbfe5384d
	s_mov_b32 s25, 0x3fec55a7
	buffer_store_dword v40, off, s[52:55], 0 offset:76 ; 4-byte Folded Spill
	s_nop 0
	buffer_store_dword v41, off, s[52:55], 0 offset:80 ; 4-byte Folded Spill
	buffer_store_dword v42, off, s[52:55], 0 offset:84 ; 4-byte Folded Spill
	;; [unrolled: 1-line block ×4, first 2 shown]
	s_nop 0
	buffer_store_dword v45, off, s[52:55], 0 offset:116 ; 4-byte Folded Spill
	buffer_store_dword v46, off, s[52:55], 0 offset:120 ; 4-byte Folded Spill
	;; [unrolled: 1-line block ×6, first 2 shown]
	v_add_f64 v[199:200], v[213:214], v[120:121]
	buffer_store_dword v213, off, s[52:55], 0 offset:96 ; 4-byte Folded Spill
	s_nop 0
	buffer_store_dword v214, off, s[52:55], 0 offset:100 ; 4-byte Folded Spill
	buffer_store_dword v215, off, s[52:55], 0 offset:104 ; 4-byte Folded Spill
	;; [unrolled: 1-line block ×3, first 2 shown]
	v_mul_f64 v[164:165], v[2:3], s[16:17]
	v_mov_b32_e32 v6, v2
	v_add_f64 v[2:3], v[144:145], -v[140:141]
	v_mul_f64 v[207:208], v[195:196], s[28:29]
	v_add_f64 v[189:190], v[126:127], v[162:163]
	v_fma_f64 v[197:198], v[187:188], s[24:25], v[174:175]
	v_add_f64 v[205:206], v[118:119], v[193:194]
	v_add_f64 v[201:202], v[130:131], -v[158:159]
	v_mul_f64 v[213:214], v[203:204], s[20:21]
	s_mov_b32 s40, 0x42a4c3d2
	s_mov_b32 s26, 0xd0032e0c
	;; [unrolled: 1-line block ×4, first 2 shown]
	buffer_store_dword v211, off, s[52:55], 0 ; 4-byte Folded Spill
	s_nop 0
	buffer_store_dword v212, off, s[52:55], 0 offset:4 ; 4-byte Folded Spill
	buffer_store_dword v212, off, s[52:55], 0 offset:92 ; 4-byte Folded Spill
	v_mul_f64 v[170:171], v[2:3], s[40:41]
	v_add_f64 v[193:194], v[146:147], v[142:143]
	v_fma_f64 v[209:210], v[189:190], s[26:27], v[207:208]
	v_add_f64 v[211:212], v[197:198], v[205:206]
	v_add_f64 v[205:206], v[126:127], -v[162:163]
	v_add_f64 v[197:198], v[156:157], v[128:129]
	v_mul_f64 v[230:231], v[201:202], s[22:23]
	buffer_store_dword v217, off, s[52:55], 0 offset:44 ; 4-byte Folded Spill
	v_fma_f64 v[217:218], v[199:200], s[18:19], -v[213:214]
	s_mov_b32 s30, 0x1ea71119
	s_mov_b32 s31, 0x3fe22d96
	v_fma_f64 v[219:220], v[193:194], s[30:31], v[170:171]
	v_fma_f64 v[172:173], v[191:192], s[18:19], -v[172:173]
	v_add_f64 v[209:210], v[209:210], v[211:212]
	v_add_f64 v[215:216], v[146:147], -v[142:143]
	v_add_f64 v[211:212], v[124:125], v[160:161]
	v_mul_f64 v[232:233], v[205:206], s[28:29]
	v_fma_f64 v[237:238], v[197:198], s[24:25], -v[230:231]
	v_add_f64 v[239:240], v[116:117], v[217:218]
	v_fma_f64 v[174:175], v[187:188], s[24:25], -v[174:175]
	v_add_f64 v[172:173], v[118:119], v[172:173]
	v_add_f64 v[241:242], v[219:220], v[209:210]
	v_add_f64 v[217:218], v[134:135], -v[154:155]
	v_add_f64 v[209:210], v[144:145], v[140:141]
	v_mul_f64 v[243:244], v[215:216], s[40:41]
	v_fma_f64 v[245:246], v[211:212], s[26:27], -v[232:233]
	v_add_f64 v[237:238], v[237:238], v[239:240]
	v_add_f64 v[0:1], v[148:149], -v[136:137]
	v_add_f64 v[179:180], v[154:155], v[134:135]
	v_fma_f64 v[239:240], v[189:190], s[26:27], -v[207:208]
	v_add_f64 v[172:173], v[174:175], v[172:173]
	v_add_f64 v[219:220], v[150:151], -v[138:139]
	v_add_f64 v[207:208], v[152:153], v[132:133]
	v_mul_f64 v[174:175], v[217:218], s[16:17]
	v_fma_f64 v[247:248], v[209:210], s[30:31], -v[243:244]
	v_fma_f64 v[249:250], v[199:200], s[18:19], v[213:214]
	v_add_f64 v[237:238], v[245:246], v[237:238]
	s_mov_b32 s34, 0x66966769
	s_mov_b32 s10, 0xb2365da1
	;; [unrolled: 1-line block ×4, first 2 shown]
	v_add_f64 v[177:178], v[138:139], v[150:151]
	v_mul_f64 v[166:167], v[0:1], s[34:35]
	v_fma_f64 v[168:169], v[179:180], s[10:11], v[164:165]
	v_fma_f64 v[170:171], v[193:194], s[30:31], -v[170:171]
	v_add_f64 v[172:173], v[239:240], v[172:173]
	v_add_f64 v[213:214], v[136:137], v[148:149]
	v_mul_f64 v[239:240], v[219:220], s[34:35]
	v_fma_f64 v[245:246], v[207:208], s[10:11], -v[174:175]
	v_fma_f64 v[230:231], v[197:198], s[24:25], v[230:231]
	v_add_f64 v[249:250], v[116:117], v[249:250]
	v_add_f64 v[237:238], v[247:248], v[237:238]
	s_mov_b32 s8, 0xebaa3ed8
	s_mov_b32 s9, 0x3fbedb7d
	v_fma_f64 v[164:165], v[179:180], s[10:11], -v[164:165]
	v_add_f64 v[170:171], v[170:171], v[172:173]
	v_fma_f64 v[172:173], v[177:178], s[8:9], v[166:167]
	v_add_f64 v[168:169], v[168:169], v[241:242]
	v_fma_f64 v[241:242], v[213:214], s[8:9], -v[239:240]
	v_fma_f64 v[232:233], v[211:212], s[26:27], v[232:233]
	v_add_f64 v[230:231], v[230:231], v[249:250]
	v_add_f64 v[237:238], v[245:246], v[237:238]
	v_mul_f64 v[247:248], v[223:224], s[28:29]
	v_fma_f64 v[245:246], v[177:178], s[8:9], -v[166:167]
	v_add_f64 v[170:171], v[164:165], v[170:171]
	v_fma_f64 v[243:244], v[209:210], s[30:31], v[243:244]
	v_add_f64 v[10:11], v[172:173], v[168:169]
	v_mul_f64 v[172:173], v[221:222], s[34:35]
	v_add_f64 v[230:231], v[232:233], v[230:231]
	v_add_f64 v[8:9], v[241:242], v[237:238]
	v_fma_f64 v[232:233], v[191:192], s[26:27], v[247:248]
	v_mul_f64 v[237:238], v[203:204], s[28:29]
	s_mov_b32 s37, 0xbfea55e2
	s_mov_b32 s36, s40
	v_add_f64 v[41:42], v[245:246], v[170:171]
	v_fma_f64 v[168:169], v[213:214], s[8:9], v[239:240]
	v_add_f64 v[230:231], v[243:244], v[230:231]
	v_mul_f64 v[239:240], v[195:196], s[36:37]
	v_fma_f64 v[241:242], v[187:188], s[8:9], v[172:173]
	v_add_f64 v[232:233], v[118:119], v[232:233]
	v_mul_f64 v[243:244], v[201:202], s[34:35]
	v_fma_f64 v[245:246], v[199:200], s[26:27], -v[237:238]
	v_fma_f64 v[247:248], v[191:192], s[26:27], -v[247:248]
	v_mov_b32_e32 v45, v3
	s_mov_b32 s45, 0x3fcea1e5
	s_mov_b32 s44, s20
	v_mov_b32_e32 v44, v2
	v_mul_f64 v[249:250], v[44:45], s[44:45]
	v_fma_f64 v[251:252], v[189:190], s[30:31], v[239:240]
	v_add_f64 v[232:233], v[241:242], v[232:233]
	v_mul_f64 v[253:254], v[205:206], s[36:37]
	v_fma_f64 v[234:235], v[197:198], s[8:9], -v[243:244]
	v_add_f64 v[245:246], v[116:117], v[245:246]
	v_fma_f64 v[172:173], v[187:188], s[8:9], -v[172:173]
	v_add_f64 v[247:248], v[118:119], v[247:248]
	v_mov_b32_e32 v23, v1
	v_mov_b32_e32 v22, v0
	v_fma_f64 v[225:226], v[193:194], s[18:19], v[249:250]
	v_add_f64 v[232:233], v[251:252], v[232:233]
	v_mul_f64 v[0:1], v[215:216], s[44:45]
	v_fma_f64 v[2:3], v[211:212], s[30:31], -v[253:254]
	v_add_f64 v[234:235], v[234:235], v[245:246]
	v_fma_f64 v[239:240], v[189:190], s[30:31], -v[239:240]
	v_add_f64 v[172:173], v[172:173], v[247:248]
	v_fma_f64 v[174:175], v[207:208], s[10:11], v[174:175]
	v_mul_f64 v[241:242], v[6:7], s[22:23]
	v_add_f64 v[225:226], v[225:226], v[232:233]
	v_fma_f64 v[232:233], v[209:210], s[18:19], -v[0:1]
	v_fma_f64 v[247:248], v[193:194], s[18:19], -v[249:250]
	v_add_f64 v[2:3], v[2:3], v[234:235]
	v_fma_f64 v[237:238], v[199:200], s[26:27], v[237:238]
	v_add_f64 v[172:173], v[239:240], v[172:173]
	v_add_f64 v[174:175], v[174:175], v[230:231]
	v_fma_f64 v[245:246], v[179:180], s[24:25], v[241:242]
	v_mul_f64 v[230:231], v[217:218], s[22:23]
	v_mul_f64 v[251:252], v[22:23], s[16:17]
	s_mov_b32 s43, 0x3fe5384d
	v_add_f64 v[2:3], v[232:233], v[2:3]
	v_fma_f64 v[232:233], v[179:180], s[24:25], -v[241:242]
	v_add_f64 v[172:173], v[247:248], v[172:173]
	v_fma_f64 v[241:242], v[197:198], s[8:9], v[243:244]
	v_add_f64 v[237:238], v[116:117], v[237:238]
	v_add_f64 v[225:226], v[245:246], v[225:226]
	v_fma_f64 v[245:246], v[207:208], s[24:25], -v[230:231]
	v_mul_f64 v[243:244], v[223:224], s[16:17]
	v_add_f64 v[39:40], v[168:169], v[174:175]
	s_mov_b32 s42, s28
	v_add_f64 v[232:233], v[232:233], v[172:173]
	v_fma_f64 v[172:173], v[211:212], s[30:31], v[253:254]
	v_add_f64 v[237:238], v[241:242], v[237:238]
	v_mul_f64 v[241:242], v[203:204], s[16:17]
	v_fma_f64 v[234:235], v[177:178], s[10:11], v[251:252]
	v_add_f64 v[2:3], v[245:246], v[2:3]
	v_mul_f64 v[245:246], v[221:222], s[42:43]
	v_fma_f64 v[247:248], v[191:192], s[10:11], v[243:244]
	v_mul_f64 v[249:250], v[201:202], s[42:43]
	buffer_store_dword v8, off, s[52:55], 0 offset:128 ; 4-byte Folded Spill
	s_nop 0
	buffer_store_dword v9, off, s[52:55], 0 offset:132 ; 4-byte Folded Spill
	buffer_store_dword v10, off, s[52:55], 0 offset:136 ; 4-byte Folded Spill
	;; [unrolled: 1-line block ×3, first 2 shown]
	v_add_f64 v[172:173], v[172:173], v[237:238]
	v_fma_f64 v[237:238], v[199:200], s[10:11], -v[241:242]
	buffer_store_dword v39, off, s[52:55], 0 offset:144 ; 4-byte Folded Spill
	s_nop 0
	buffer_store_dword v40, off, s[52:55], 0 offset:148 ; 4-byte Folded Spill
	buffer_store_dword v41, off, s[52:55], 0 offset:152 ; 4-byte Folded Spill
	;; [unrolled: 1-line block ×3, first 2 shown]
	v_mov_b32_e32 v164, v181
	v_add_f64 v[41:42], v[234:235], v[225:226]
	v_fma_f64 v[234:235], v[177:178], s[10:11], -v[251:252]
	v_fma_f64 v[0:1], v[209:210], s[18:19], v[0:1]
	v_mul_f64 v[251:252], v[195:196], s[22:23]
	v_fma_f64 v[253:254], v[187:188], s[26:27], v[245:246]
	v_add_f64 v[247:248], v[118:119], v[247:248]
	v_mul_f64 v[4:5], v[205:206], s[22:23]
	v_mov_b32_e32 v165, v182
	v_mov_b32_e32 v166, v183
	;; [unrolled: 1-line block ×3, first 2 shown]
	v_fma_f64 v[181:182], v[197:198], s[26:27], -v[249:250]
	v_add_f64 v[237:238], v[116:117], v[237:238]
	s_mov_b32 s39, 0xbfefc445
	s_mov_b32 s38, s34
	v_mul_f64 v[183:184], v[44:45], s[38:39]
	v_fma_f64 v[185:186], v[189:190], s[24:25], v[251:252]
	v_add_f64 v[247:248], v[253:254], v[247:248]
	v_add_f64 v[0:1], v[0:1], v[172:173]
	v_fma_f64 v[172:173], v[191:192], s[10:11], -v[243:244]
	v_mul_f64 v[253:254], v[215:216], s[38:39]
	v_fma_f64 v[243:244], v[211:212], s[24:25], -v[4:5]
	v_add_f64 v[181:182], v[181:182], v[237:238]
	v_mul_f64 v[237:238], v[6:7], s[44:45]
	v_fma_f64 v[8:9], v[193:194], s[8:9], v[183:184]
	v_add_f64 v[10:11], v[185:186], v[247:248]
	v_fma_f64 v[185:186], v[187:188], s[26:27], -v[245:246]
	v_add_f64 v[172:173], v[118:119], v[172:173]
	v_mul_f64 v[245:246], v[217:218], s[44:45]
	v_fma_f64 v[247:248], v[209:210], s[8:9], -v[253:254]
	v_add_f64 v[181:182], v[243:244], v[181:182]
	v_mov_b32_e32 v171, v15
	v_mul_f64 v[239:240], v[219:220], s[16:17]
	v_mov_b32_e32 v170, v14
	v_mov_b32_e32 v169, v13
	;; [unrolled: 1-line block ×3, first 2 shown]
	v_fma_f64 v[12:13], v[179:180], s[18:19], v[237:238]
	v_add_f64 v[8:9], v[8:9], v[10:11]
	v_fma_f64 v[10:11], v[189:190], s[24:25], -v[251:252]
	v_add_f64 v[14:15], v[185:186], v[172:173]
	v_mul_f64 v[185:186], v[219:220], s[40:41]
	v_fma_f64 v[172:173], v[207:208], s[18:19], -v[245:246]
	v_add_f64 v[181:182], v[247:248], v[181:182]
	v_fma_f64 v[225:226], v[213:214], s[10:11], -v[239:240]
	v_fma_f64 v[230:231], v[207:208], s[24:25], v[230:231]
	v_mul_f64 v[243:244], v[22:23], s[40:41]
	v_add_f64 v[8:9], v[12:13], v[8:9]
	v_add_f64 v[10:11], v[10:11], v[14:15]
	v_fma_f64 v[12:13], v[213:214], s[30:31], -v[185:186]
	v_fma_f64 v[247:248], v[213:214], s[10:11], v[239:240]
	v_add_f64 v[14:15], v[172:173], v[181:182]
	v_add_f64 v[39:40], v[225:226], v[2:3]
	;; [unrolled: 1-line block ×3, first 2 shown]
	v_fma_f64 v[230:231], v[177:178], s[30:31], v[243:244]
	v_fma_f64 v[2:3], v[199:200], s[10:11], v[241:242]
	v_fma_f64 v[183:184], v[193:194], s[8:9], -v[183:184]
	v_add_f64 v[239:240], v[234:235], v[232:233]
	v_fma_f64 v[181:182], v[179:180], s[18:19], -v[237:238]
	v_add_f64 v[172:173], v[12:13], v[14:15]
	v_mul_f64 v[12:13], v[223:224], s[38:39]
	v_add_f64 v[237:238], v[247:248], v[0:1]
	v_add_f64 v[174:175], v[230:231], v[8:9]
	v_fma_f64 v[0:1], v[197:198], s[26:27], v[249:250]
	v_add_f64 v[2:3], v[116:117], v[2:3]
	v_mul_f64 v[225:226], v[203:204], s[38:39]
	v_mul_f64 v[230:231], v[221:222], s[20:21]
	s_mov_b32 s41, 0x3fedeba7
	v_fma_f64 v[232:233], v[191:192], s[8:9], v[12:13]
	s_mov_b32 s40, s16
	v_add_f64 v[183:184], v[183:184], v[10:11]
	v_fma_f64 v[14:15], v[177:178], s[30:31], -v[243:244]
	v_fma_f64 v[4:5], v[211:212], s[24:25], v[4:5]
	v_add_f64 v[0:1], v[0:1], v[2:3]
	v_mul_f64 v[2:3], v[201:202], s[20:21]
	v_fma_f64 v[234:235], v[199:200], s[8:9], -v[225:226]
	v_mul_f64 v[241:242], v[195:196], s[40:41]
	v_fma_f64 v[243:244], v[187:188], s[18:19], v[230:231]
	v_add_f64 v[232:233], v[118:119], v[232:233]
	v_add_f64 v[181:182], v[181:182], v[183:184]
	v_fma_f64 v[183:184], v[209:210], s[8:9], v[253:254]
	v_add_f64 v[0:1], v[4:5], v[0:1]
	v_fma_f64 v[4:5], v[207:208], s[18:19], v[245:246]
	v_mul_f64 v[253:254], v[205:206], s[40:41]
	v_fma_f64 v[245:246], v[197:198], s[18:19], -v[2:3]
	v_add_f64 v[234:235], v[116:117], v[234:235]
	v_mul_f64 v[247:248], v[44:45], s[22:23]
	v_fma_f64 v[249:250], v[189:190], s[10:11], v[241:242]
	v_add_f64 v[232:233], v[243:244], v[232:233]
	buffer_store_dword v39, off, s[52:55], 0 offset:160 ; 4-byte Folded Spill
	s_nop 0
	buffer_store_dword v40, off, s[52:55], 0 offset:164 ; 4-byte Folded Spill
	buffer_store_dword v41, off, s[52:55], 0 offset:168 ; 4-byte Folded Spill
	;; [unrolled: 1-line block ×3, first 2 shown]
	v_mov_b32_e32 v39, v35
	v_mov_b32_e32 v38, v34
	;; [unrolled: 1-line block ×15, first 2 shown]
	v_add_f64 v[0:1], v[183:184], v[0:1]
	v_mul_f64 v[183:184], v[215:216], s[22:23]
	v_fma_f64 v[243:244], v[211:212], s[10:11], -v[253:254]
	v_fma_f64 v[12:13], v[191:192], s[8:9], -v[12:13]
	v_add_f64 v[234:235], v[245:246], v[234:235]
	v_mul_f64 v[16:17], v[40:41], s[36:37]
	v_mov_b32_e32 v26, v20
	v_mov_b32_e32 v25, v19
	;; [unrolled: 1-line block ×3, first 2 shown]
	v_fma_f64 v[18:19], v[193:194], s[24:25], v[247:248]
	v_add_f64 v[232:233], v[249:250], v[232:233]
	v_mov_b32_e32 v10, v22
	v_mov_b32_e32 v11, v23
	v_mul_f64 v[6:7], v[217:218], s[36:37]
	v_fma_f64 v[245:246], v[209:210], s[24:25], -v[183:184]
	v_fma_f64 v[230:231], v[187:188], s[18:19], -v[230:231]
	v_add_f64 v[12:13], v[118:119], v[12:13]
	v_add_f64 v[234:235], v[243:244], v[234:235]
	v_mul_f64 v[243:244], v[10:11], s[28:29]
	v_fma_f64 v[249:250], v[179:180], s[30:31], v[16:17]
	v_add_f64 v[18:19], v[18:19], v[232:233]
	v_mul_f64 v[232:233], v[219:220], s[28:29]
	v_fma_f64 v[251:252], v[207:208], s[30:31], -v[6:7]
	v_fma_f64 v[241:242], v[189:190], s[10:11], -v[241:242]
	v_add_f64 v[12:13], v[230:231], v[12:13]
	v_add_f64 v[230:231], v[245:246], v[234:235]
	v_fma_f64 v[185:186], v[213:214], s[30:31], v[185:186]
	v_add_f64 v[0:1], v[4:5], v[0:1]
	v_fma_f64 v[4:5], v[177:178], s[26:27], v[243:244]
	v_add_f64 v[18:19], v[249:250], v[18:19]
	v_fma_f64 v[234:235], v[213:214], s[26:27], -v[232:233]
	v_fma_f64 v[249:250], v[193:194], s[24:25], -v[247:248]
	v_add_f64 v[12:13], v[241:242], v[12:13]
	v_add_f64 v[230:231], v[251:252], v[230:231]
	;; [unrolled: 1-line block ×4, first 2 shown]
	v_fma_f64 v[0:1], v[199:200], s[8:9], v[225:226]
	v_add_f64 v[251:252], v[4:5], v[18:19]
	v_fma_f64 v[4:5], v[179:180], s[30:31], -v[16:17]
	v_mul_f64 v[14:15], v[223:224], s[36:37]
	v_mul_f64 v[16:17], v[203:204], s[36:37]
	v_add_f64 v[12:13], v[249:250], v[12:13]
	v_add_f64 v[249:250], v[234:235], v[230:231]
	v_fma_f64 v[2:3], v[197:198], s[18:19], v[2:3]
	v_add_f64 v[0:1], v[116:117], v[0:1]
	v_mul_f64 v[181:182], v[221:222], s[16:17]
	v_mul_f64 v[225:226], v[201:202], s[16:17]
	v_fma_f64 v[185:186], v[191:192], s[30:31], v[14:15]
	v_fma_f64 v[230:231], v[199:200], s[30:31], -v[16:17]
	v_fma_f64 v[18:19], v[177:178], s[26:27], -v[243:244]
	v_add_f64 v[4:5], v[4:5], v[12:13]
	v_fma_f64 v[12:13], v[211:212], s[10:11], v[253:254]
	v_add_f64 v[0:1], v[2:3], v[0:1]
	v_mul_f64 v[2:3], v[195:196], s[20:21]
	v_fma_f64 v[234:235], v[187:188], s[10:11], v[181:182]
	v_add_f64 v[185:186], v[118:119], v[185:186]
	v_mul_f64 v[241:242], v[205:206], s[20:21]
	v_fma_f64 v[243:244], v[197:198], s[10:11], -v[225:226]
	v_add_f64 v[230:231], v[116:117], v[230:231]
	v_fma_f64 v[183:184], v[209:210], s[24:25], v[183:184]
	v_add_f64 v[0:1], v[12:13], v[0:1]
	v_fma_f64 v[253:254], v[189:190], s[18:19], v[2:3]
	v_mul_f64 v[12:13], v[44:45], s[42:43]
	v_add_f64 v[185:186], v[234:235], v[185:186]
	v_mul_f64 v[234:235], v[215:216], s[42:43]
	v_fma_f64 v[20:21], v[211:212], s[18:19], -v[241:242]
	v_add_f64 v[22:23], v[243:244], v[230:231]
	v_fma_f64 v[6:7], v[207:208], s[30:31], v[6:7]
	v_add_f64 v[0:1], v[183:184], v[0:1]
	v_fma_f64 v[243:244], v[213:214], s[26:27], v[232:233]
	v_mov_b32_e32 v43, v11
	v_add_f64 v[185:186], v[253:254], v[185:186]
	v_mul_f64 v[253:254], v[217:218], s[34:35]
	v_fma_f64 v[232:233], v[209:210], s[26:27], -v[234:235]
	v_add_f64 v[20:21], v[20:21], v[22:23]
	v_mul_f64 v[183:184], v[40:41], s[34:35]
	v_fma_f64 v[230:231], v[193:194], s[26:27], v[12:13]
	v_add_f64 v[0:1], v[6:7], v[0:1]
	v_mul_f64 v[6:7], v[10:11], s[22:23]
	v_mov_b32_e32 v42, v10
	v_fma_f64 v[10:11], v[207:208], s[8:9], -v[253:254]
	v_fma_f64 v[14:15], v[191:192], s[30:31], -v[14:15]
	v_add_f64 v[20:21], v[232:233], v[20:21]
	v_mul_f64 v[8:9], v[219:220], s[22:23]
	s_mov_b32 s23, 0xbfddbe06
	v_fma_f64 v[22:23], v[179:180], s[8:9], v[183:184]
	v_add_f64 v[185:186], v[230:231], v[185:186]
	v_add_f64 v[230:231], v[243:244], v[0:1]
	v_fma_f64 v[0:1], v[187:188], s[10:11], -v[181:182]
	v_add_f64 v[14:15], v[118:119], v[14:15]
	v_add_f64 v[10:11], v[10:11], v[20:21]
	v_fma_f64 v[16:17], v[199:200], s[30:31], v[16:17]
	v_mul_f64 v[20:21], v[223:224], s[22:23]
	v_add_f64 v[232:233], v[18:19], v[4:5]
	v_add_f64 v[18:19], v[22:23], v[185:186]
	v_fma_f64 v[181:182], v[179:180], s[8:9], -v[183:184]
	v_fma_f64 v[2:3], v[189:190], s[18:19], -v[2:3]
	v_add_f64 v[0:1], v[0:1], v[14:15]
	v_fma_f64 v[14:15], v[197:198], s[10:11], v[225:226]
	v_add_f64 v[16:17], v[116:117], v[16:17]
	v_mul_f64 v[183:184], v[221:222], s[36:37]
	v_fma_f64 v[185:186], v[191:192], s[24:25], v[20:21]
	v_add_f64 v[120:121], v[116:117], v[120:121]
	v_add_f64 v[122:123], v[118:119], v[122:123]
	v_fma_f64 v[12:13], v[193:194], s[26:27], -v[12:13]
	v_add_f64 v[0:1], v[2:3], v[0:1]
	v_fma_f64 v[2:3], v[211:212], s[18:19], v[241:242]
	v_add_f64 v[14:15], v[14:15], v[16:17]
	v_mul_f64 v[16:17], v[195:196], s[38:39]
	v_fma_f64 v[195:196], v[187:188], s[30:31], v[183:184]
	v_add_f64 v[185:186], v[118:119], v[185:186]
	v_add_f64 v[120:121], v[128:129], v[120:121]
	;; [unrolled: 1-line block ×4, first 2 shown]
	v_fma_f64 v[12:13], v[209:210], s[26:27], v[234:235]
	v_add_f64 v[2:3], v[2:3], v[14:15]
	v_mul_f64 v[14:15], v[44:45], s[16:17]
	v_fma_f64 v[128:129], v[189:190], s[8:9], v[16:17]
	v_add_f64 v[130:131], v[195:196], v[185:186]
	v_add_f64 v[120:121], v[124:125], v[120:121]
	;; [unrolled: 1-line block ×3, first 2 shown]
	v_fma_f64 v[4:5], v[177:178], s[24:25], v[6:7]
	v_fma_f64 v[6:7], v[177:178], s[24:25], -v[6:7]
	v_add_f64 v[0:1], v[181:182], v[0:1]
	v_fma_f64 v[124:125], v[207:208], s[8:9], v[253:254]
	v_add_f64 v[2:3], v[12:13], v[2:3]
	v_fma_f64 v[126:127], v[193:194], s[10:11], v[14:15]
	v_add_f64 v[128:129], v[128:129], v[130:131]
	v_add_f64 v[130:131], v[144:145], v[120:121]
	;; [unrolled: 1-line block ×3, first 2 shown]
	v_fma_f64 v[22:23], v[213:214], s[24:25], -v[8:9]
	v_add_f64 v[120:121], v[6:7], v[0:1]
	v_fma_f64 v[6:7], v[213:214], s[24:25], v[8:9]
	v_add_f64 v[8:9], v[124:125], v[2:3]
	v_fma_f64 v[20:21], v[191:192], s[24:25], -v[20:21]
	v_add_f64 v[124:125], v[126:127], v[128:129]
	v_add_f64 v[126:127], v[132:133], v[130:131]
	v_mul_f64 v[128:129], v[203:204], s[22:23]
	v_add_f64 v[122:123], v[134:135], v[122:123]
	v_mul_f64 v[144:145], v[201:202], s[36:37]
	v_fma_f64 v[16:17], v[189:190], s[8:9], -v[16:17]
	v_mul_f64 v[134:135], v[215:216], s[16:17]
	v_add_f64 v[20:21], v[118:119], v[20:21]
	v_mul_f64 v[12:13], v[40:41], s[28:29]
	v_add_f64 v[126:127], v[148:149], v[126:127]
	v_fma_f64 v[146:147], v[199:200], s[24:25], v[128:129]
	v_add_f64 v[122:123], v[150:151], v[122:123]
	v_fma_f64 v[128:129], v[199:200], s[24:25], -v[128:129]
	v_fma_f64 v[150:151], v[187:188], s[30:31], -v[183:184]
	v_mul_f64 v[148:149], v[205:206], s[38:39]
	v_fma_f64 v[118:119], v[197:198], s[30:31], v[144:145]
	v_fma_f64 v[14:15], v[193:194], s[10:11], -v[14:15]
	v_add_f64 v[126:127], v[136:137], v[126:127]
	v_add_f64 v[136:137], v[116:117], v[146:147]
	;; [unrolled: 1-line block ×3, first 2 shown]
	v_fma_f64 v[138:139], v[197:198], s[30:31], -v[144:145]
	v_add_f64 v[116:117], v[116:117], v[128:129]
	v_add_f64 v[20:21], v[150:151], v[20:21]
	v_fma_f64 v[128:129], v[211:212], s[8:9], v[148:149]
	v_mul_f64 v[132:133], v[217:218], s[28:29]
	v_mul_f64 v[0:1], v[42:43], s[20:21]
	v_add_f64 v[118:119], v[118:119], v[136:137]
	v_fma_f64 v[136:137], v[211:212], s[8:9], -v[148:149]
	v_fma_f64 v[2:3], v[179:180], s[26:27], v[12:13]
	v_add_f64 v[116:117], v[138:139], v[116:117]
	v_add_f64 v[16:17], v[16:17], v[20:21]
	v_fma_f64 v[20:21], v[209:210], s[10:11], v[134:135]
	v_fma_f64 v[12:13], v[179:180], s[26:27], -v[12:13]
	buffer_load_dword v217, off, s[52:55], 0 offset:44 ; 4-byte Folded Reload
	v_add_f64 v[118:119], v[128:129], v[118:119]
	v_fma_f64 v[128:129], v[209:210], s[10:11], -v[134:135]
	buffer_load_dword v44, off, s[52:55], 0 offset:112 ; 4-byte Folded Reload
	buffer_load_dword v45, off, s[52:55], 0 offset:116 ; 4-byte Folded Reload
	;; [unrolled: 1-line block ×8, first 2 shown]
	v_add_f64 v[116:117], v[136:137], v[116:117]
	v_add_f64 v[14:15], v[14:15], v[16:17]
	v_fma_f64 v[16:17], v[207:208], s[26:27], v[132:133]
	buffer_load_dword v200, off, s[52:55], 0 offset:72 ; 4-byte Folded Reload
	buffer_load_dword v199, off, s[52:55], 0 offset:68 ; 4-byte Folded Reload
	;; [unrolled: 1-line block ×6, first 2 shown]
	v_add_f64 v[20:21], v[20:21], v[118:119]
	buffer_load_dword v198, off, s[52:55], 0 offset:64 ; 4-byte Folded Reload
	buffer_load_dword v189, off, s[52:55], 0 offset:24 ; 4-byte Folded Reload
	;; [unrolled: 1-line block ×5, first 2 shown]
	v_add_f64 v[116:117], v[128:129], v[116:117]
	v_fma_f64 v[128:129], v[177:178], s[18:19], -v[0:1]
	v_add_f64 v[12:13], v[12:13], v[14:15]
	buffer_load_dword v211, off, s[52:55], 0 ; 4-byte Folded Reload
	buffer_load_dword v212, off, s[52:55], 0 offset:4 ; 4-byte Folded Reload
	buffer_load_dword v194, off, s[52:55], 0 offset:48 ; 4-byte Folded Reload
	;; [unrolled: 1-line block ×6, first 2 shown]
	v_fma_f64 v[118:119], v[207:208], s[26:27], -v[132:133]
	v_add_f64 v[16:17], v[16:17], v[20:21]
	v_fma_f64 v[20:21], v[177:178], s[18:19], v[0:1]
	v_add_f64 v[132:133], v[2:3], v[124:125]
	buffer_load_dword v0, off, s[52:55], 0 offset:96 ; 4-byte Folded Reload
	buffer_load_dword v1, off, s[52:55], 0 offset:100 ; 4-byte Folded Reload
	;; [unrolled: 1-line block ×4, first 2 shown]
	v_add_f64 v[124:125], v[128:129], v[12:13]
	v_add_f64 v[128:129], v[4:5], v[18:19]
	buffer_load_dword v4, off, s[52:55], 0 offset:92 ; 4-byte Folded Reload
	v_add_f64 v[122:123], v[154:155], v[122:123]
	v_add_f64 v[126:127], v[152:153], v[126:127]
	v_mul_f64 v[130:131], v[219:220], s[20:21]
	v_add_f64 v[116:117], v[118:119], v[116:117]
	v_add_f64 v[118:119], v[6:7], v[8:9]
	v_add_f64 v[132:133], v[20:21], v[132:133]
	v_mov_b32_e32 v18, v24
	v_mov_b32_e32 v19, v25
	v_add_f64 v[122:123], v[142:143], v[122:123]
	v_add_f64 v[126:127], v[140:141], v[126:127]
	v_fma_f64 v[14:15], v[213:214], s[18:19], v[130:131]
	v_fma_f64 v[130:131], v[213:214], s[18:19], -v[130:131]
	v_mov_b32_e32 v20, v26
	v_mov_b32_e32 v21, v27
	;; [unrolled: 1-line block ×4, first 2 shown]
	v_add_f64 v[122:123], v[162:163], v[122:123]
	v_add_f64 v[126:127], v[160:161], v[126:127]
	v_mov_b32_e32 v26, v30
	v_add_f64 v[130:131], v[130:131], v[116:117]
	v_mov_b32_e32 v27, v31
	v_mov_b32_e32 v28, v32
	;; [unrolled: 1-line block ×4, first 2 shown]
	v_add_f64 v[122:123], v[158:159], v[122:123]
	v_add_f64 v[126:127], v[156:157], v[126:127]
	v_mov_b32_e32 v30, v34
	v_mov_b32_e32 v31, v35
	;; [unrolled: 1-line block ×9, first 2 shown]
	s_waitcnt vmcnt(1)
	v_add_f64 v[2:3], v[2:3], v[122:123]
	v_add_f64 v[0:1], v[0:1], v[126:127]
	;; [unrolled: 1-line block ×3, first 2 shown]
	s_waitcnt vmcnt(0)
	v_lshlrev_b32_e32 v4, 4, v4
	ds_write_b128 v4, v[0:3]
	ds_write_b128 v4, v[122:125] offset:16
	ds_write_b128 v4, v[118:121] offset:32
	;; [unrolled: 1-line block ×5, first 2 shown]
	buffer_load_dword v0, off, s[52:55], 0 offset:144 ; 4-byte Folded Reload
	buffer_load_dword v1, off, s[52:55], 0 offset:148 ; 4-byte Folded Reload
	buffer_load_dword v2, off, s[52:55], 0 offset:152 ; 4-byte Folded Reload
	buffer_load_dword v3, off, s[52:55], 0 offset:156 ; 4-byte Folded Reload
	v_add_f64 v[126:127], v[22:23], v[10:11]
	v_mov_b32_e32 v12, v168
	v_mov_b32_e32 v13, v169
	v_mov_b32_e32 v14, v170
	v_mov_b32_e32 v15, v171
	s_waitcnt vmcnt(0)
	ds_write_b128 v4, v[0:3] offset:96
	buffer_load_dword v0, off, s[52:55], 0 offset:128 ; 4-byte Folded Reload
	buffer_load_dword v1, off, s[52:55], 0 offset:132 ; 4-byte Folded Reload
	;; [unrolled: 1-line block ×4, first 2 shown]
	s_waitcnt vmcnt(0)
	ds_write_b128 v4, v[0:3] offset:112
	buffer_load_dword v0, off, s[52:55], 0 offset:160 ; 4-byte Folded Reload
	buffer_load_dword v1, off, s[52:55], 0 offset:164 ; 4-byte Folded Reload
	;; [unrolled: 1-line block ×4, first 2 shown]
	s_waitcnt vmcnt(0)
	ds_write_b128 v4, v[0:3] offset:128
	ds_write_b128 v4, v[172:175] offset:144
	;; [unrolled: 1-line block ×5, first 2 shown]
.LBB0_13:
	s_or_b64 exec, exec, s[2:3]
	s_waitcnt lgkmcnt(0)
	s_barrier
	ds_read_b128 v[0:3], v227 offset:9984
	ds_read_b128 v[116:119], v227
	ds_read_b128 v[120:123], v227 offset:2496
	ds_read_b128 v[124:127], v227 offset:12480
	;; [unrolled: 1-line block ×4, first 2 shown]
	s_waitcnt lgkmcnt(5)
	v_mul_f64 v[4:5], v[14:15], v[2:3]
	v_mul_f64 v[6:7], v[14:15], v[0:1]
	ds_read_b128 v[136:139], v227 offset:4992
	ds_read_b128 v[140:143], v227 offset:7488
	s_waitcnt lgkmcnt(3)
	v_mul_f64 v[8:9], v[20:21], v[130:131]
	ds_read_b128 v[144:147], v227 offset:14976
	ds_read_b128 v[148:151], v227 offset:17472
	s_waitcnt lgkmcnt(4)
	v_mul_f64 v[14:15], v[26:27], v[132:133]
	ds_read_b128 v[152:155], v227 offset:24960
	ds_read_b128 v[156:159], v227 offset:27456
	s_mov_b32 s8, 0xe8584caa
	v_fma_f64 v[10:11], v[12:13], v[0:1], v[4:5]
	v_mul_f64 v[0:1], v[20:21], v[128:129]
	v_fma_f64 v[2:3], v[12:13], v[2:3], -v[6:7]
	v_mul_f64 v[4:5], v[30:31], v[126:127]
	v_mul_f64 v[6:7], v[30:31], v[124:125]
	;; [unrolled: 1-line block ×3, first 2 shown]
	v_fma_f64 v[8:9], v[18:19], v[128:129], v[8:9]
	s_waitcnt lgkmcnt(3)
	v_mul_f64 v[16:17], v[34:35], v[146:147]
	v_fma_f64 v[14:15], v[24:25], v[134:135], -v[14:15]
	v_fma_f64 v[18:19], v[18:19], v[130:131], -v[0:1]
	v_mul_f64 v[0:1], v[34:35], v[144:145]
	v_fma_f64 v[20:21], v[28:29], v[124:125], v[4:5]
	v_fma_f64 v[22:23], v[28:29], v[126:127], -v[6:7]
	v_fma_f64 v[12:13], v[24:25], v[132:133], v[12:13]
	s_waitcnt lgkmcnt(1)
	v_mul_f64 v[4:5], v[183:184], v[154:155]
	v_fma_f64 v[26:27], v[32:33], v[144:145], v[16:17]
	v_mul_f64 v[6:7], v[183:184], v[152:153]
	v_mul_f64 v[16:17], v[191:192], v[148:149]
	v_add_f64 v[24:25], v[10:11], v[8:9]
	v_fma_f64 v[124:125], v[32:33], v[146:147], -v[0:1]
	v_mul_f64 v[0:1], v[191:192], v[150:151]
	v_add_f64 v[28:29], v[2:3], v[18:19]
	v_fma_f64 v[34:35], v[181:182], v[152:153], v[4:5]
	s_waitcnt lgkmcnt(0)
	v_mul_f64 v[4:5], v[187:188], v[158:159]
	v_fma_f64 v[126:127], v[181:182], v[154:155], -v[6:7]
	v_add_f64 v[6:7], v[116:117], v[10:11]
	v_fma_f64 v[130:131], v[189:190], v[150:151], -v[16:17]
	v_fma_f64 v[16:17], v[24:25], -0.5, v[116:117]
	v_add_f64 v[24:25], v[2:3], -v[18:19]
	s_mov_b32 s9, 0xbfebb67a
	s_mov_b32 s3, 0x3febb67a
	;; [unrolled: 1-line block ×3, first 2 shown]
	v_mul_f64 v[30:31], v[187:188], v[156:157]
	v_fma_f64 v[128:129], v[189:190], v[148:149], v[0:1]
	v_fma_f64 v[116:117], v[185:186], v[156:157], v[4:5]
	v_add_f64 v[0:1], v[6:7], v[8:9]
	v_add_f64 v[2:3], v[118:119], v[2:3]
	v_fma_f64 v[4:5], v[24:25], s[8:9], v[16:17]
	v_add_f64 v[6:7], v[20:21], v[12:13]
	v_fma_f64 v[28:29], v[28:29], -0.5, v[118:119]
	v_add_f64 v[10:11], v[10:11], -v[8:9]
	v_fma_f64 v[8:9], v[24:25], s[2:3], v[16:17]
	v_add_f64 v[16:17], v[22:23], v[14:15]
	v_add_f64 v[32:33], v[26:27], v[34:35]
	v_fma_f64 v[132:133], v[185:186], v[158:159], -v[30:31]
	v_add_f64 v[2:3], v[2:3], v[18:19]
	v_add_f64 v[18:19], v[120:121], v[20:21]
	v_fma_f64 v[24:25], v[6:7], -0.5, v[120:121]
	v_add_f64 v[30:31], v[22:23], -v[14:15]
	v_fma_f64 v[6:7], v[10:11], s[2:3], v[28:29]
	v_fma_f64 v[10:11], v[10:11], s[8:9], v[28:29]
	v_add_f64 v[22:23], v[122:123], v[22:23]
	v_fma_f64 v[28:29], v[16:17], -0.5, v[122:123]
	v_add_f64 v[118:119], v[20:21], -v[12:13]
	v_add_f64 v[120:121], v[136:137], v[26:27]
	v_fma_f64 v[32:33], v[32:33], -0.5, v[136:137]
	v_add_f64 v[122:123], v[124:125], -v[126:127]
	v_add_f64 v[12:13], v[18:19], v[12:13]
	v_fma_f64 v[16:17], v[30:31], s[8:9], v[24:25]
	v_fma_f64 v[20:21], v[30:31], s[2:3], v[24:25]
	v_add_f64 v[14:15], v[22:23], v[14:15]
	v_fma_f64 v[18:19], v[118:119], s[2:3], v[28:29]
	v_add_f64 v[30:31], v[124:125], v[126:127]
	;; [unrolled: 2-line block ×3, first 2 shown]
	v_add_f64 v[118:119], v[128:129], v[116:117]
	v_add_f64 v[120:121], v[130:131], v[132:133]
	v_fma_f64 v[28:29], v[122:123], s[8:9], v[32:33]
	v_fma_f64 v[32:33], v[122:123], s[2:3], v[32:33]
	v_add_f64 v[122:123], v[138:139], v[124:125]
	v_fma_f64 v[124:125], v[30:31], -0.5, v[138:139]
	v_add_f64 v[34:35], v[26:27], -v[34:35]
	v_add_f64 v[134:135], v[140:141], v[128:129]
	v_fma_f64 v[118:119], v[118:119], -0.5, v[140:141]
	v_add_f64 v[136:137], v[130:131], -v[132:133]
	;; [unrolled: 3-line block ×3, first 2 shown]
	v_add_f64 v[26:27], v[122:123], v[126:127]
	v_fma_f64 v[30:31], v[34:35], s[2:3], v[124:125]
	v_fma_f64 v[34:35], v[34:35], s[8:9], v[124:125]
	v_add_f64 v[116:117], v[134:135], v[116:117]
	v_fma_f64 v[120:121], v[136:137], s[8:9], v[118:119]
	v_fma_f64 v[124:125], v[136:137], s[2:3], v[118:119]
	;; [unrolled: 3-line block ×3, first 2 shown]
	s_barrier
	ds_write_b128 v193, v[0:3]
	ds_write_b128 v193, v[4:7] offset:208
	ds_write_b128 v193, v[8:11] offset:416
	ds_write_b128 v228, v[12:15]
	ds_write_b128 v228, v[16:19] offset:208
	ds_write_b128 v228, v[20:23] offset:416
	;; [unrolled: 3-line block ×4, first 2 shown]
	s_waitcnt lgkmcnt(0)
	s_barrier
	ds_read_b128 v[0:3], v227
	ds_read_b128 v[4:7], v227 offset:2496
	ds_read_b128 v[8:11], v227 offset:14976
	;; [unrolled: 1-line block ×11, first 2 shown]
	s_waitcnt lgkmcnt(7)
	v_mul_f64 v[128:129], v[46:47], v[18:19]
	v_mul_f64 v[46:47], v[46:47], v[16:17]
	;; [unrolled: 1-line block ×4, first 2 shown]
	s_waitcnt lgkmcnt(3)
	v_mul_f64 v[132:133], v[196:197], v[34:35]
	v_mul_f64 v[38:39], v[196:197], v[32:33]
	;; [unrolled: 1-line block ×4, first 2 shown]
	v_fma_f64 v[16:17], v[44:45], v[16:17], v[128:129]
	v_fma_f64 v[18:19], v[44:45], v[18:19], -v[46:47]
	v_fma_f64 v[8:9], v[40:41], v[8:9], v[130:131]
	v_fma_f64 v[10:11], v[40:41], v[10:11], -v[42:43]
	;; [unrolled: 2-line block ×3, first 2 shown]
	v_mul_f64 v[38:39], v[54:55], v[12:13]
	s_waitcnt lgkmcnt(1)
	v_mul_f64 v[40:41], v[50:51], v[122:123]
	v_mul_f64 v[42:43], v[50:51], v[120:121]
	;; [unrolled: 1-line block ×3, first 2 shown]
	v_add_f64 v[44:45], v[0:1], -v[8:9]
	v_add_f64 v[46:47], v[2:3], -v[10:11]
	;; [unrolled: 1-line block ×4, first 2 shown]
	v_fma_f64 v[36:37], v[52:53], v[12:13], v[36:37]
	v_fma_f64 v[38:39], v[52:53], v[14:15], -v[38:39]
	v_fma_f64 v[40:41], v[48:49], v[120:121], v[40:41]
	v_fma_f64 v[42:43], v[48:49], v[122:123], -v[42:43]
	v_fma_f64 v[8:9], v[0:1], 2.0, -v[44:45]
	v_fma_f64 v[10:11], v[2:3], 2.0, -v[46:47]
	v_fma_f64 v[0:1], v[16:17], 2.0, -v[32:33]
	v_fma_f64 v[2:3], v[18:19], 2.0, -v[34:35]
	v_mul_f64 v[12:13], v[70:71], v[30:31]
	v_mul_f64 v[14:15], v[70:71], v[28:29]
	;; [unrolled: 1-line block ×4, first 2 shown]
	s_waitcnt lgkmcnt(0)
	v_mul_f64 v[48:49], v[62:63], v[126:127]
	v_mul_f64 v[50:51], v[62:63], v[124:125]
	v_fma_f64 v[24:25], v[56:57], v[24:25], v[134:135]
	v_fma_f64 v[26:27], v[56:57], v[26:27], -v[58:59]
	v_fma_f64 v[28:29], v[68:69], v[28:29], v[12:13]
	v_fma_f64 v[30:31], v[68:69], v[30:31], -v[14:15]
	;; [unrolled: 2-line block ×4, first 2 shown]
	v_add_f64 v[12:13], v[44:45], v[34:35]
	v_add_f64 v[14:15], v[46:47], -v[32:33]
	v_add_f64 v[36:37], v[4:5], -v[36:37]
	;; [unrolled: 1-line block ×9, first 2 shown]
	v_fma_f64 v[48:49], v[4:5], 2.0, -v[36:37]
	v_fma_f64 v[50:51], v[6:7], 2.0, -v[38:39]
	;; [unrolled: 1-line block ×4, first 2 shown]
	v_add_f64 v[0:1], v[8:9], -v[0:1]
	v_add_f64 v[2:3], v[10:11], -v[2:3]
	v_fma_f64 v[56:57], v[20:21], 2.0, -v[52:53]
	v_fma_f64 v[58:59], v[22:23], 2.0, -v[54:55]
	;; [unrolled: 1-line block ×4, first 2 shown]
	v_add_f64 v[16:17], v[48:49], -v[16:17]
	v_add_f64 v[18:19], v[50:51], -v[18:19]
	v_add_f64 v[20:21], v[36:37], v[34:35]
	v_add_f64 v[22:23], v[38:39], -v[32:33]
	v_fma_f64 v[8:9], v[8:9], 2.0, -v[0:1]
	v_fma_f64 v[10:11], v[10:11], 2.0, -v[2:3]
	v_add_f64 v[24:25], v[56:57], -v[24:25]
	v_add_f64 v[26:27], v[58:59], -v[26:27]
	v_add_f64 v[28:29], v[52:53], v[42:43]
	v_add_f64 v[30:31], v[54:55], -v[40:41]
	v_fma_f64 v[4:5], v[44:45], 2.0, -v[12:13]
	v_fma_f64 v[6:7], v[46:47], 2.0, -v[14:15]
	;; [unrolled: 1-line block ×10, first 2 shown]
	s_barrier
	ds_write_b128 v198, v[8:11]
	ds_write_b128 v198, v[4:7] offset:624
	ds_write_b128 v198, v[0:3] offset:1248
	ds_write_b128 v198, v[12:15] offset:1872
	ds_write_b128 v199, v[32:35]
	ds_write_b128 v199, v[36:39] offset:624
	ds_write_b128 v199, v[16:19] offset:1248
	ds_write_b128 v199, v[20:23] offset:1872
	;; [unrolled: 4-line block ×3, first 2 shown]
	s_waitcnt lgkmcnt(0)
	s_barrier
	ds_read_b128 v[0:3], v227
	ds_read_b128 v[4:7], v227 offset:2496
	ds_read_b128 v[8:11], v227 offset:4992
	;; [unrolled: 1-line block ×7, first 2 shown]
	s_waitcnt lgkmcnt(5)
	v_mul_f64 v[48:49], v[90:91], v[10:11]
	v_mul_f64 v[50:51], v[90:91], v[8:9]
	s_waitcnt lgkmcnt(3)
	v_mul_f64 v[52:53], v[86:87], v[18:19]
	v_mul_f64 v[54:55], v[86:87], v[16:17]
	s_waitcnt lgkmcnt(1)
	v_mul_f64 v[56:57], v[82:83], v[26:27]
	ds_read_b128 v[32:35], v227 offset:19968
	ds_read_b128 v[36:39], v227 offset:22464
	ds_read_b128 v[40:43], v227 offset:24960
	ds_read_b128 v[44:47], v227 offset:27456
	s_waitcnt lgkmcnt(0)
	v_fma_f64 v[8:9], v[88:89], v[8:9], v[48:49]
	v_mul_f64 v[48:49], v[82:83], v[24:25]
	v_fma_f64 v[10:11], v[88:89], v[10:11], -v[50:51]
	v_fma_f64 v[16:17], v[84:85], v[16:17], v[52:53]
	v_mul_f64 v[50:51], v[78:79], v[34:35]
	v_mul_f64 v[52:53], v[78:79], v[32:33]
	v_fma_f64 v[18:19], v[84:85], v[18:19], -v[54:55]
	v_fma_f64 v[24:25], v[80:81], v[24:25], v[56:57]
	v_mul_f64 v[54:55], v[74:75], v[42:43]
	v_mul_f64 v[56:57], v[74:75], v[40:41]
	v_fma_f64 v[26:27], v[80:81], v[26:27], -v[48:49]
	v_mul_f64 v[48:49], v[90:91], v[14:15]
	v_fma_f64 v[32:33], v[76:77], v[32:33], v[50:51]
	v_fma_f64 v[34:35], v[76:77], v[34:35], -v[52:53]
	v_mul_f64 v[50:51], v[90:91], v[12:13]
	v_mul_f64 v[52:53], v[86:87], v[22:23]
	v_fma_f64 v[40:41], v[72:73], v[40:41], v[54:55]
	v_fma_f64 v[42:43], v[72:73], v[42:43], -v[56:57]
	v_mul_f64 v[54:55], v[86:87], v[20:21]
	v_fma_f64 v[48:49], v[88:89], v[12:13], v[48:49]
	v_mul_f64 v[12:13], v[82:83], v[30:31]
	v_mul_f64 v[56:57], v[82:83], v[28:29]
	v_fma_f64 v[50:51], v[88:89], v[14:15], -v[50:51]
	v_fma_f64 v[52:53], v[84:85], v[20:21], v[52:53]
	v_mul_f64 v[14:15], v[78:79], v[38:39]
	v_mul_f64 v[20:21], v[78:79], v[36:37]
	v_fma_f64 v[22:23], v[84:85], v[22:23], -v[54:55]
	v_add_f64 v[54:55], v[16:17], v[32:33]
	v_fma_f64 v[28:29], v[80:81], v[28:29], v[12:13]
	v_fma_f64 v[30:31], v[80:81], v[30:31], -v[56:57]
	v_mul_f64 v[12:13], v[74:75], v[46:47]
	v_add_f64 v[56:57], v[26:27], v[42:43]
	v_fma_f64 v[36:37], v[76:77], v[36:37], v[14:15]
	v_fma_f64 v[38:39], v[76:77], v[38:39], -v[20:21]
	v_add_f64 v[14:15], v[0:1], v[16:17]
	v_fma_f64 v[0:1], v[54:55], -0.5, v[0:1]
	v_add_f64 v[20:21], v[18:19], -v[34:35]
	v_add_f64 v[54:55], v[24:25], v[40:41]
	v_fma_f64 v[58:59], v[72:73], v[44:45], v[12:13]
	v_fma_f64 v[12:13], v[56:57], -0.5, v[10:11]
	v_add_f64 v[56:57], v[24:25], -v[40:41]
	v_mul_f64 v[44:45], v[74:75], v[44:45]
	v_add_f64 v[60:61], v[14:15], v[32:33]
	v_add_f64 v[14:15], v[18:19], v[34:35]
	v_fma_f64 v[62:63], v[20:21], s[8:9], v[0:1]
	v_fma_f64 v[54:55], v[54:55], -0.5, v[8:9]
	v_add_f64 v[64:65], v[26:27], -v[42:43]
	v_fma_f64 v[66:67], v[20:21], s[2:3], v[0:1]
	v_fma_f64 v[0:1], v[56:57], s[2:3], v[12:13]
	;; [unrolled: 1-line block ×3, first 2 shown]
	v_add_f64 v[18:19], v[2:3], v[18:19]
	v_add_f64 v[8:9], v[8:9], v[24:25]
	v_fma_f64 v[2:3], v[14:15], -0.5, v[2:3]
	v_add_f64 v[14:15], v[16:17], -v[32:33]
	v_fma_f64 v[16:17], v[64:65], s[8:9], v[54:55]
	v_fma_f64 v[20:21], v[64:65], s[2:3], v[54:55]
	v_mul_f64 v[24:25], v[0:1], s[8:9]
	v_mul_f64 v[32:33], v[12:13], s[8:9]
	v_add_f64 v[10:11], v[10:11], v[26:27]
	v_add_f64 v[18:19], v[18:19], v[34:35]
	v_mul_f64 v[0:1], v[0:1], 0.5
	v_add_f64 v[34:35], v[8:9], v[40:41]
	v_fma_f64 v[44:45], v[72:73], v[46:47], -v[44:45]
	v_mul_f64 v[12:13], v[12:13], -0.5
	v_fma_f64 v[24:25], v[16:17], 0.5, v[24:25]
	v_fma_f64 v[32:33], v[20:21], -0.5, v[32:33]
	v_add_f64 v[40:41], v[10:11], v[42:43]
	v_add_f64 v[46:47], v[52:53], v[36:37]
	v_fma_f64 v[54:55], v[16:17], s[2:3], v[0:1]
	v_add_f64 v[0:1], v[60:61], v[34:35]
	v_add_f64 v[16:17], v[60:61], -v[34:35]
	v_add_f64 v[34:35], v[30:31], v[44:45]
	v_fma_f64 v[26:27], v[14:15], s[2:3], v[2:3]
	v_fma_f64 v[42:43], v[14:15], s[8:9], v[2:3]
	;; [unrolled: 1-line block ×3, first 2 shown]
	v_add_f64 v[8:9], v[62:63], v[24:25]
	v_add_f64 v[12:13], v[66:67], v[32:33]
	;; [unrolled: 1-line block ×3, first 2 shown]
	v_add_f64 v[20:21], v[62:63], -v[24:25]
	v_add_f64 v[60:61], v[4:5], v[52:53]
	v_add_f64 v[24:25], v[66:67], -v[32:33]
	v_fma_f64 v[4:5], v[46:47], -0.5, v[4:5]
	v_add_f64 v[32:33], v[22:23], -v[38:39]
	v_add_f64 v[46:47], v[28:29], v[58:59]
	v_add_f64 v[18:19], v[18:19], -v[40:41]
	v_fma_f64 v[34:35], v[34:35], -0.5, v[50:51]
	v_add_f64 v[40:41], v[28:29], -v[58:59]
	v_add_f64 v[62:63], v[6:7], v[22:23]
	v_add_f64 v[22:23], v[22:23], v[38:39]
	v_add_f64 v[66:67], v[30:31], -v[44:45]
	v_fma_f64 v[64:65], v[32:33], s[8:9], v[4:5]
	v_fma_f64 v[46:47], v[46:47], -0.5, v[48:49]
	v_fma_f64 v[68:69], v[32:33], s[2:3], v[4:5]
	v_add_f64 v[28:29], v[48:49], v[28:29]
	v_fma_f64 v[4:5], v[40:41], s[2:3], v[34:35]
	v_fma_f64 v[32:33], v[40:41], s[8:9], v[34:35]
	v_add_f64 v[30:31], v[50:51], v[30:31]
	v_add_f64 v[60:61], v[60:61], v[36:37]
	v_fma_f64 v[6:7], v[22:23], -0.5, v[6:7]
	v_add_f64 v[22:23], v[52:53], -v[36:37]
	v_fma_f64 v[34:35], v[66:67], s[8:9], v[46:47]
	v_fma_f64 v[36:37], v[66:67], s[2:3], v[46:47]
	v_mul_f64 v[40:41], v[4:5], s[8:9]
	v_mul_f64 v[46:47], v[32:33], s[8:9]
	v_mul_f64 v[4:5], v[4:5], 0.5
	v_mul_f64 v[32:33], v[32:33], -0.5
	v_add_f64 v[38:39], v[62:63], v[38:39]
	v_add_f64 v[52:53], v[28:29], v[58:59]
	;; [unrolled: 1-line block ×3, first 2 shown]
	v_fma_f64 v[48:49], v[22:23], s[2:3], v[6:7]
	v_fma_f64 v[50:51], v[22:23], s[8:9], v[6:7]
	v_fma_f64 v[40:41], v[34:35], 0.5, v[40:41]
	v_fma_f64 v[46:47], v[36:37], -0.5, v[46:47]
	v_fma_f64 v[62:63], v[34:35], s[2:3], v[4:5]
	v_fma_f64 v[66:67], v[36:37], s[2:3], v[32:33]
	v_add_f64 v[10:11], v[26:27], v[54:55]
	v_add_f64 v[14:15], v[42:43], v[56:57]
	v_add_f64 v[22:23], v[26:27], -v[54:55]
	v_add_f64 v[26:27], v[42:43], -v[56:57]
	v_add_f64 v[4:5], v[60:61], v[52:53]
	v_add_f64 v[6:7], v[38:39], v[58:59]
	;; [unrolled: 1-line block ×6, first 2 shown]
	v_add_f64 v[36:37], v[60:61], -v[52:53]
	v_add_f64 v[40:41], v[64:65], -v[40:41]
	;; [unrolled: 1-line block ×6, first 2 shown]
	s_barrier
	ds_write_b128 v227, v[0:3]
	ds_write_b128 v227, v[8:11] offset:2496
	ds_write_b128 v227, v[12:15] offset:4992
	;; [unrolled: 1-line block ×11, first 2 shown]
	s_waitcnt lgkmcnt(0)
	s_barrier
	ds_read_b128 v[0:3], v227
	ds_read_b128 v[4:7], v227 offset:2496
	ds_read_b128 v[8:11], v227 offset:14976
	;; [unrolled: 1-line block ×11, first 2 shown]
	s_waitcnt lgkmcnt(9)
	v_mul_f64 v[48:49], v[94:95], v[10:11]
	v_mul_f64 v[50:51], v[94:95], v[8:9]
	s_waitcnt lgkmcnt(8)
	v_mul_f64 v[52:53], v[98:99], v[14:15]
	v_mul_f64 v[54:55], v[98:99], v[12:13]
	;; [unrolled: 3-line block ×4, first 2 shown]
	v_fma_f64 v[8:9], v[92:93], v[8:9], v[48:49]
	v_fma_f64 v[10:11], v[92:93], v[10:11], -v[50:51]
	v_fma_f64 v[12:13], v[96:97], v[12:13], v[52:53]
	v_fma_f64 v[14:15], v[96:97], v[14:15], -v[54:55]
	s_waitcnt lgkmcnt(1)
	v_mul_f64 v[48:49], v[106:107], v[42:43]
	v_mul_f64 v[50:51], v[106:107], v[40:41]
	s_waitcnt lgkmcnt(0)
	v_mul_f64 v[52:53], v[114:115], v[46:47]
	v_mul_f64 v[54:55], v[114:115], v[44:45]
	v_fma_f64 v[24:25], v[100:101], v[24:25], v[56:57]
	v_fma_f64 v[26:27], v[100:101], v[26:27], -v[58:59]
	v_fma_f64 v[28:29], v[108:109], v[28:29], v[60:61]
	v_fma_f64 v[30:31], v[108:109], v[30:31], -v[62:63]
	v_add_f64 v[8:9], v[0:1], -v[8:9]
	v_add_f64 v[10:11], v[2:3], -v[10:11]
	v_fma_f64 v[40:41], v[104:105], v[40:41], v[48:49]
	v_fma_f64 v[42:43], v[104:105], v[42:43], -v[50:51]
	v_fma_f64 v[44:45], v[112:113], v[44:45], v[52:53]
	v_fma_f64 v[46:47], v[112:113], v[46:47], -v[54:55]
	v_add_f64 v[12:13], v[4:5], -v[12:13]
	v_add_f64 v[14:15], v[6:7], -v[14:15]
	;; [unrolled: 1-line block ×6, first 2 shown]
	v_fma_f64 v[0:1], v[0:1], 2.0, -v[8:9]
	v_fma_f64 v[2:3], v[2:3], 2.0, -v[10:11]
	v_add_f64 v[40:41], v[32:33], -v[40:41]
	v_add_f64 v[42:43], v[34:35], -v[42:43]
	;; [unrolled: 1-line block ×4, first 2 shown]
	v_fma_f64 v[4:5], v[4:5], 2.0, -v[12:13]
	v_fma_f64 v[6:7], v[6:7], 2.0, -v[14:15]
	;; [unrolled: 1-line block ×10, first 2 shown]
	ds_write_b128 v227, v[0:3]
	ds_write_b128 v227, v[8:11] offset:14976
	ds_write_b128 v227, v[4:7] offset:2496
	;; [unrolled: 1-line block ×11, first 2 shown]
	s_waitcnt lgkmcnt(0)
	s_barrier
	s_and_b64 exec, exec, s[0:1]
	s_cbranch_execz .LBB0_15
; %bb.14:
	v_mov_b32_e32 v0, s15
	v_add_co_u32_e32 v72, vcc, s14, v176
	v_addc_co_u32_e32 v73, vcc, 0, v0, vcc
	s_movk_i32 s0, 0x1000
	global_load_dwordx4 v[0:3], v176, s[14:15]
	global_load_dwordx4 v[4:7], v176, s[14:15] offset:2304
	v_add_co_u32_e32 v16, vcc, s0, v72
	v_addc_co_u32_e32 v17, vcc, 0, v73, vcc
	global_load_dwordx4 v[8:11], v[16:17], off offset:512
	global_load_dwordx4 v[12:15], v[16:17], off offset:2816
	v_mad_u64_u32 v[62:63], s[2:3], s4, v217, 0
	s_movk_i32 s2, 0x2000
	v_add_co_u32_e32 v40, vcc, s2, v72
	v_addc_co_u32_e32 v41, vcc, 0, v73, vcc
	global_load_dwordx4 v[20:23], v[40:41], off offset:1024
	ds_read_b128 v[16:19], v227
	ds_read_b128 v[24:27], v229 offset:2304
	ds_read_b128 v[28:31], v229 offset:4608
	;; [unrolled: 1-line block ×4, first 2 shown]
	global_load_dwordx4 v[40:43], v[40:41], off offset:3328
	v_mad_u64_u32 v[60:61], s[0:1], s6, v211, 0
	s_mul_hi_u32 s6, s4, 0x900
	s_mul_i32 s2, s4, 0x900
	s_movk_i32 s4, 0x3000
	v_add_co_u32_e32 v52, vcc, s4, v72
	v_addc_co_u32_e32 v53, vcc, 0, v73, vcc
	global_load_dwordx4 v[44:47], v[52:53], off offset:1536
	global_load_dwordx4 v[48:51], v[52:53], off offset:3840
	s_mul_i32 s3, s5, 0x900
	v_mov_b32_e32 v52, v61
	v_mov_b32_e32 v53, v63
	s_add_i32 s3, s6, s3
	v_mad_u64_u32 v[68:69], s[6:7], s7, v211, v[52:53]
	s_movk_i32 s8, 0x4000
	v_mad_u64_u32 v[69:70], s[4:5], s5, v217, v[53:54]
	v_add_co_u32_e32 v64, vcc, s8, v72
	s_movk_i32 s9, 0x5000
	v_addc_co_u32_e32 v65, vcc, 0, v73, vcc
	v_mov_b32_e32 v61, v68
	v_add_co_u32_e32 v66, vcc, s9, v72
	v_lshlrev_b64 v[60:61], 4, v[60:61]
	v_addc_co_u32_e32 v67, vcc, 0, v73, vcc
	v_mov_b32_e32 v63, v69
	v_mov_b32_e32 v71, s13
	v_lshlrev_b64 v[62:63], 4, v[62:63]
	v_add_co_u32_e32 v60, vcc, s12, v60
	v_addc_co_u32_e32 v61, vcc, v71, v61, vcc
	v_add_co_u32_e32 v60, vcc, v60, v62
	v_addc_co_u32_e32 v61, vcc, v61, v63, vcc
	global_load_dwordx4 v[52:55], v[64:65], off offset:2048
	global_load_dwordx4 v[56:59], v[66:67], off offset:256
	s_mov_b32 s0, 0x11811812
	s_mov_b32 s1, 0x3f418118
	v_mov_b32_e32 v74, s3
	v_add_co_u32_e32 v70, vcc, s2, v60
	v_addc_co_u32_e32 v71, vcc, v61, v74, vcc
	v_mov_b32_e32 v75, s3
	s_movk_i32 s4, 0x6000
	s_waitcnt vmcnt(9) lgkmcnt(4)
	v_mul_f64 v[62:63], v[18:19], v[2:3]
	v_mul_f64 v[2:3], v[16:17], v[2:3]
	s_waitcnt vmcnt(8) lgkmcnt(3)
	v_mul_f64 v[64:65], v[26:27], v[6:7]
	v_mul_f64 v[6:7], v[24:25], v[6:7]
	s_waitcnt vmcnt(7) lgkmcnt(2)
	v_mul_f64 v[68:69], v[30:31], v[10:11]
	v_mul_f64 v[10:11], v[28:29], v[10:11]
	v_fma_f64 v[16:17], v[16:17], v[0:1], v[62:63]
	v_fma_f64 v[2:3], v[0:1], v[18:19], -v[2:3]
	v_fma_f64 v[18:19], v[24:25], v[4:5], v[64:65]
	v_fma_f64 v[6:7], v[4:5], v[26:27], -v[6:7]
	s_waitcnt vmcnt(6) lgkmcnt(1)
	v_mul_f64 v[26:27], v[34:35], v[14:15]
	v_fma_f64 v[24:25], v[28:29], v[8:9], v[68:69]
	v_fma_f64 v[10:11], v[8:9], v[30:31], -v[10:11]
	v_mul_f64 v[14:15], v[32:33], v[14:15]
	v_mul_f64 v[0:1], v[16:17], s[0:1]
	v_mul_f64 v[2:3], v[2:3], s[0:1]
	v_mul_f64 v[4:5], v[18:19], s[0:1]
	v_mul_f64 v[6:7], v[6:7], s[0:1]
	v_fma_f64 v[16:17], v[32:33], v[12:13], v[26:27]
	v_mul_f64 v[8:9], v[24:25], s[0:1]
	v_mul_f64 v[10:11], v[10:11], s[0:1]
	v_add_co_u32_e32 v24, vcc, s2, v70
	v_addc_co_u32_e32 v25, vcc, v71, v75, vcc
	global_store_dwordx4 v[60:61], v[0:3], off
	global_store_dwordx4 v[70:71], v[4:7], off
	;; [unrolled: 1-line block ×3, first 2 shown]
	global_load_dwordx4 v[0:3], v[66:67], off offset:2560
	v_add_co_u32_e32 v26, vcc, s4, v72
	v_addc_co_u32_e32 v27, vcc, 0, v73, vcc
	global_load_dwordx4 v[4:7], v[26:27], off offset:768
	v_fma_f64 v[10:11], v[12:13], v[34:35], -v[14:15]
	s_waitcnt vmcnt(10) lgkmcnt(0)
	v_mul_f64 v[18:19], v[38:39], v[22:23]
	v_mul_f64 v[22:23], v[36:37], v[22:23]
	ds_read_b128 v[12:15], v229 offset:11520
	v_mul_f64 v[8:9], v[16:17], s[0:1]
	v_mov_b32_e32 v32, s3
	v_add_co_u32_e32 v24, vcc, s2, v24
	v_mul_f64 v[10:11], v[10:11], s[0:1]
	v_fma_f64 v[28:29], v[36:37], v[20:21], v[18:19]
	ds_read_b128 v[16:19], v229 offset:13824
	v_fma_f64 v[20:21], v[20:21], v[38:39], -v[22:23]
	s_waitcnt vmcnt(9) lgkmcnt(1)
	v_mul_f64 v[22:23], v[14:15], v[42:43]
	v_mul_f64 v[30:31], v[12:13], v[42:43]
	v_addc_co_u32_e32 v25, vcc, v25, v32, vcc
	global_store_dwordx4 v[24:25], v[8:11], off
	v_add_co_u32_e32 v24, vcc, s2, v24
	v_mul_f64 v[8:9], v[28:29], s[0:1]
	v_mul_f64 v[10:11], v[20:21], s[0:1]
	v_fma_f64 v[12:13], v[12:13], v[40:41], v[22:23]
	v_fma_f64 v[14:15], v[40:41], v[14:15], -v[30:31]
	s_waitcnt vmcnt(9) lgkmcnt(0)
	v_mul_f64 v[20:21], v[18:19], v[46:47]
	v_mul_f64 v[22:23], v[16:17], v[46:47]
	v_mov_b32_e32 v28, s3
	v_addc_co_u32_e32 v25, vcc, v25, v28, vcc
	global_store_dwordx4 v[24:25], v[8:11], off
	v_add_co_u32_e32 v24, vcc, s2, v24
	v_mul_f64 v[8:9], v[12:13], s[0:1]
	v_mul_f64 v[10:11], v[14:15], s[0:1]
	ds_read_b128 v[12:15], v229 offset:16128
	v_fma_f64 v[20:21], v[16:17], v[44:45], v[20:21]
	v_fma_f64 v[22:23], v[44:45], v[18:19], -v[22:23]
	ds_read_b128 v[16:19], v229 offset:18432
	v_addc_co_u32_e32 v25, vcc, v25, v32, vcc
	s_waitcnt vmcnt(9) lgkmcnt(1)
	v_mul_f64 v[28:29], v[14:15], v[50:51]
	v_mul_f64 v[30:31], v[12:13], v[50:51]
	global_store_dwordx4 v[24:25], v[8:11], off
	v_add_co_u32_e32 v24, vcc, s2, v24
	v_mul_f64 v[8:9], v[20:21], s[0:1]
	v_mul_f64 v[10:11], v[22:23], s[0:1]
	s_waitcnt vmcnt(9) lgkmcnt(0)
	v_mul_f64 v[20:21], v[18:19], v[54:55]
	v_fma_f64 v[12:13], v[12:13], v[48:49], v[28:29]
	v_fma_f64 v[14:15], v[48:49], v[14:15], -v[30:31]
	v_mul_f64 v[22:23], v[16:17], v[54:55]
	v_addc_co_u32_e32 v25, vcc, v25, v32, vcc
	v_mov_b32_e32 v28, s3
	global_store_dwordx4 v[24:25], v[8:11], off
	v_fma_f64 v[16:17], v[16:17], v[52:53], v[20:21]
	v_mul_f64 v[8:9], v[12:13], s[0:1]
	v_mul_f64 v[10:11], v[14:15], s[0:1]
	v_fma_f64 v[20:21], v[52:53], v[18:19], -v[22:23]
	ds_read_b128 v[12:15], v229 offset:20736
	v_add_co_u32_e32 v22, vcc, s2, v24
	v_addc_co_u32_e32 v23, vcc, v25, v28, vcc
	v_add_co_u32_e32 v30, vcc, s2, v22
	global_store_dwordx4 v[22:23], v[8:11], off
	s_nop 0
	v_mul_f64 v[8:9], v[16:17], s[0:1]
	ds_read_b128 v[16:19], v229 offset:23040
	s_waitcnt vmcnt(10) lgkmcnt(1)
	v_mul_f64 v[24:25], v[14:15], v[58:59]
	v_mul_f64 v[28:29], v[12:13], v[58:59]
	;; [unrolled: 1-line block ×3, first 2 shown]
	v_mov_b32_e32 v20, s3
	v_addc_co_u32_e32 v31, vcc, v23, v20, vcc
	ds_read_b128 v[20:23], v229 offset:25344
	s_waitcnt vmcnt(6) lgkmcnt(1)
	v_mul_f64 v[32:33], v[18:19], v[2:3]
	v_mul_f64 v[2:3], v[16:17], v[2:3]
	v_fma_f64 v[24:25], v[12:13], v[56:57], v[24:25]
	v_fma_f64 v[28:29], v[56:57], v[14:15], -v[28:29]
	ds_read_b128 v[12:15], v229 offset:27648
	s_waitcnt vmcnt(5) lgkmcnt(1)
	v_mul_f64 v[34:35], v[22:23], v[6:7]
	v_mul_f64 v[36:37], v[20:21], v[6:7]
	global_store_dwordx4 v[30:31], v[8:11], off
	v_fma_f64 v[2:3], v[0:1], v[18:19], -v[2:3]
	v_fma_f64 v[10:11], v[16:17], v[0:1], v[32:33]
	v_mul_f64 v[6:7], v[24:25], s[0:1]
	v_mul_f64 v[8:9], v[28:29], s[0:1]
	v_fma_f64 v[16:17], v[20:21], v[4:5], v[34:35]
	v_fma_f64 v[18:19], v[4:5], v[22:23], -v[36:37]
	v_mov_b32_e32 v24, s3
	v_add_co_u32_e32 v20, vcc, s2, v30
	v_mul_f64 v[0:1], v[10:11], s[0:1]
	v_mul_f64 v[2:3], v[2:3], s[0:1]
	v_addc_co_u32_e32 v21, vcc, v31, v24, vcc
	global_store_dwordx4 v[20:21], v[6:9], off
	v_mul_f64 v[4:5], v[16:17], s[0:1]
	v_mul_f64 v[6:7], v[18:19], s[0:1]
	v_mov_b32_e32 v9, s3
	v_add_co_u32_e32 v8, vcc, s2, v20
	v_addc_co_u32_e32 v9, vcc, v21, v9, vcc
	global_store_dwordx4 v[8:9], v[0:3], off
	v_add_co_u32_e32 v8, vcc, s2, v8
	v_mov_b32_e32 v0, s3
	v_addc_co_u32_e32 v9, vcc, v9, v0, vcc
	global_store_dwordx4 v[8:9], v[4:7], off
	global_load_dwordx4 v[0:3], v[26:27], off offset:3072
	s_waitcnt vmcnt(0) lgkmcnt(0)
	v_mul_f64 v[4:5], v[14:15], v[2:3]
	v_mul_f64 v[2:3], v[12:13], v[2:3]
	v_fma_f64 v[4:5], v[12:13], v[0:1], v[4:5]
	v_fma_f64 v[2:3], v[0:1], v[14:15], -v[2:3]
	v_mul_f64 v[0:1], v[4:5], s[0:1]
	v_mul_f64 v[2:3], v[2:3], s[0:1]
	v_mov_b32_e32 v5, s3
	v_add_co_u32_e32 v4, vcc, s2, v8
	v_addc_co_u32_e32 v5, vcc, v9, v5, vcc
	global_store_dwordx4 v[4:5], v[0:3], off
.LBB0_15:
	s_endpgm
	.section	.rodata,"a",@progbits
	.p2align	6, 0x0
	.amdhsa_kernel bluestein_single_back_len1872_dim1_dp_op_CI_CI
		.amdhsa_group_segment_fixed_size 29952
		.amdhsa_private_segment_fixed_size 180
		.amdhsa_kernarg_size 104
		.amdhsa_user_sgpr_count 6
		.amdhsa_user_sgpr_private_segment_buffer 1
		.amdhsa_user_sgpr_dispatch_ptr 0
		.amdhsa_user_sgpr_queue_ptr 0
		.amdhsa_user_sgpr_kernarg_segment_ptr 1
		.amdhsa_user_sgpr_dispatch_id 0
		.amdhsa_user_sgpr_flat_scratch_init 0
		.amdhsa_user_sgpr_private_segment_size 0
		.amdhsa_uses_dynamic_stack 0
		.amdhsa_system_sgpr_private_segment_wavefront_offset 1
		.amdhsa_system_sgpr_workgroup_id_x 1
		.amdhsa_system_sgpr_workgroup_id_y 0
		.amdhsa_system_sgpr_workgroup_id_z 0
		.amdhsa_system_sgpr_workgroup_info 0
		.amdhsa_system_vgpr_workitem_id 0
		.amdhsa_next_free_vgpr 256
		.amdhsa_next_free_sgpr 56
		.amdhsa_reserve_vcc 1
		.amdhsa_reserve_flat_scratch 0
		.amdhsa_float_round_mode_32 0
		.amdhsa_float_round_mode_16_64 0
		.amdhsa_float_denorm_mode_32 3
		.amdhsa_float_denorm_mode_16_64 3
		.amdhsa_dx10_clamp 1
		.amdhsa_ieee_mode 1
		.amdhsa_fp16_overflow 0
		.amdhsa_exception_fp_ieee_invalid_op 0
		.amdhsa_exception_fp_denorm_src 0
		.amdhsa_exception_fp_ieee_div_zero 0
		.amdhsa_exception_fp_ieee_overflow 0
		.amdhsa_exception_fp_ieee_underflow 0
		.amdhsa_exception_fp_ieee_inexact 0
		.amdhsa_exception_int_div_zero 0
	.end_amdhsa_kernel
	.text
.Lfunc_end0:
	.size	bluestein_single_back_len1872_dim1_dp_op_CI_CI, .Lfunc_end0-bluestein_single_back_len1872_dim1_dp_op_CI_CI
                                        ; -- End function
	.section	.AMDGPU.csdata,"",@progbits
; Kernel info:
; codeLenInByte = 20512
; NumSgprs: 60
; NumVgprs: 256
; ScratchSize: 180
; MemoryBound: 0
; FloatMode: 240
; IeeeMode: 1
; LDSByteSize: 29952 bytes/workgroup (compile time only)
; SGPRBlocks: 7
; VGPRBlocks: 63
; NumSGPRsForWavesPerEU: 60
; NumVGPRsForWavesPerEU: 256
; Occupancy: 1
; WaveLimiterHint : 1
; COMPUTE_PGM_RSRC2:SCRATCH_EN: 1
; COMPUTE_PGM_RSRC2:USER_SGPR: 6
; COMPUTE_PGM_RSRC2:TRAP_HANDLER: 0
; COMPUTE_PGM_RSRC2:TGID_X_EN: 1
; COMPUTE_PGM_RSRC2:TGID_Y_EN: 0
; COMPUTE_PGM_RSRC2:TGID_Z_EN: 0
; COMPUTE_PGM_RSRC2:TIDIG_COMP_CNT: 0
	.type	__hip_cuid_6b0c48f9b0ab5f29,@object ; @__hip_cuid_6b0c48f9b0ab5f29
	.section	.bss,"aw",@nobits
	.globl	__hip_cuid_6b0c48f9b0ab5f29
__hip_cuid_6b0c48f9b0ab5f29:
	.byte	0                               ; 0x0
	.size	__hip_cuid_6b0c48f9b0ab5f29, 1

	.ident	"AMD clang version 19.0.0git (https://github.com/RadeonOpenCompute/llvm-project roc-6.4.0 25133 c7fe45cf4b819c5991fe208aaa96edf142730f1d)"
	.section	".note.GNU-stack","",@progbits
	.addrsig
	.addrsig_sym __hip_cuid_6b0c48f9b0ab5f29
	.amdgpu_metadata
---
amdhsa.kernels:
  - .args:
      - .actual_access:  read_only
        .address_space:  global
        .offset:         0
        .size:           8
        .value_kind:     global_buffer
      - .actual_access:  read_only
        .address_space:  global
        .offset:         8
        .size:           8
        .value_kind:     global_buffer
      - .actual_access:  read_only
        .address_space:  global
        .offset:         16
        .size:           8
        .value_kind:     global_buffer
      - .actual_access:  read_only
        .address_space:  global
        .offset:         24
        .size:           8
        .value_kind:     global_buffer
      - .actual_access:  read_only
        .address_space:  global
        .offset:         32
        .size:           8
        .value_kind:     global_buffer
      - .offset:         40
        .size:           8
        .value_kind:     by_value
      - .address_space:  global
        .offset:         48
        .size:           8
        .value_kind:     global_buffer
      - .address_space:  global
        .offset:         56
        .size:           8
        .value_kind:     global_buffer
      - .address_space:  global
        .offset:         64
        .size:           8
        .value_kind:     global_buffer
      - .address_space:  global
        .offset:         72
        .size:           8
        .value_kind:     global_buffer
      - .offset:         80
        .size:           4
        .value_kind:     by_value
      - .address_space:  global
        .offset:         88
        .size:           8
        .value_kind:     global_buffer
      - .address_space:  global
        .offset:         96
        .size:           8
        .value_kind:     global_buffer
    .group_segment_fixed_size: 29952
    .kernarg_segment_align: 8
    .kernarg_segment_size: 104
    .language:       OpenCL C
    .language_version:
      - 2
      - 0
    .max_flat_workgroup_size: 156
    .name:           bluestein_single_back_len1872_dim1_dp_op_CI_CI
    .private_segment_fixed_size: 180
    .sgpr_count:     60
    .sgpr_spill_count: 0
    .symbol:         bluestein_single_back_len1872_dim1_dp_op_CI_CI.kd
    .uniform_work_group_size: 1
    .uses_dynamic_stack: false
    .vgpr_count:     256
    .vgpr_spill_count: 44
    .wavefront_size: 64
amdhsa.target:   amdgcn-amd-amdhsa--gfx906
amdhsa.version:
  - 1
  - 2
...

	.end_amdgpu_metadata
